;; amdgpu-corpus repo=ROCm/rocFFT kind=compiled arch=gfx1030 opt=O3
	.text
	.amdgcn_target "amdgcn-amd-amdhsa--gfx1030"
	.amdhsa_code_object_version 6
	.protected	bluestein_single_back_len1365_dim1_sp_op_CI_CI ; -- Begin function bluestein_single_back_len1365_dim1_sp_op_CI_CI
	.globl	bluestein_single_back_len1365_dim1_sp_op_CI_CI
	.p2align	8
	.type	bluestein_single_back_len1365_dim1_sp_op_CI_CI,@function
bluestein_single_back_len1365_dim1_sp_op_CI_CI: ; @bluestein_single_back_len1365_dim1_sp_op_CI_CI
; %bb.0:
	s_load_dwordx4 s[12:15], s[4:5], 0x28
	v_mul_u32_u24_e32 v1, 0x2d1, v0
	v_mov_b32_e32 v137, 0
	s_mov_b32 s0, exec_lo
	v_lshrrev_b32_e32 v2, 16, v1
	v_lshl_add_u32 v136, s6, 1, v2
	s_waitcnt lgkmcnt(0)
	v_cmpx_gt_u64_e64 s[12:13], v[136:137]
	s_cbranch_execz .LBB0_23
; %bb.1:
	s_load_dwordx4 s[8:11], s[4:5], 0x18
	v_mul_lo_u16 v1, 0x5b, v2
	s_waitcnt lgkmcnt(0)
	s_load_dwordx4 s[0:3], s[8:9], 0x0
	s_load_dwordx2 s[6:7], s[4:5], 0x0
	v_sub_nc_u16 v37, v0, v1
	v_and_b32_e32 v164, 0xffff, v37
	v_lshlrev_b32_e32 v33, 3, v164
	s_waitcnt lgkmcnt(0)
	s_clause 0x2
	global_load_dwordx2 v[151:152], v33, s[6:7]
	global_load_dwordx2 v[143:144], v33, s[6:7] offset:840
	global_load_dwordx2 v[145:146], v33, s[6:7] offset:1680
	v_mad_u64_u32 v[0:1], null, s2, v136, 0
	v_mad_u64_u32 v[3:4], null, s0, v164, 0
	v_add_co_u32 v128, s2, s6, v33
	v_add_co_ci_u32_e64 v129, null, s7, 0, s2
	v_mad_u64_u32 v[5:6], null, s3, v136, v[1:2]
	v_add_co_u32 v126, vcc_lo, 0x800, v128
	v_add_co_ci_u32_e32 v127, vcc_lo, 0, v129, vcc_lo
	v_add_co_u32 v124, vcc_lo, 0x1000, v128
	v_mad_u64_u32 v[6:7], null, s1, v164, v[4:5]
	v_mov_b32_e32 v1, v5
	v_add_co_ci_u32_e32 v125, vcc_lo, 0, v129, vcc_lo
	v_add_co_u32 v122, vcc_lo, 0x1800, v128
	v_lshlrev_b64 v[0:1], 3, v[0:1]
	v_mov_b32_e32 v4, v6
	v_add_co_ci_u32_e32 v123, vcc_lo, 0, v129, vcc_lo
	v_add_co_u32 v120, vcc_lo, 0x2000, v128
	v_add_co_ci_u32_e32 v121, vcc_lo, 0, v129, vcc_lo
	v_lshlrev_b64 v[3:4], 3, v[3:4]
	v_add_co_u32 v0, vcc_lo, s14, v0
	v_add_co_ci_u32_e32 v1, vcc_lo, s15, v1, vcc_lo
	s_mul_i32 s3, s1, 0x69
	s_mul_hi_u32 s6, s0, 0x69
	v_add_co_u32 v0, vcc_lo, v0, v3
	s_mul_i32 s2, s0, 0x69
	s_add_i32 s3, s6, s3
	v_add_co_ci_u32_e32 v1, vcc_lo, v1, v4, vcc_lo
	s_lshl_b64 s[6:7], s[2:3], 3
	s_clause 0x3
	global_load_dwordx2 v[155:156], v[126:127], off offset:472
	global_load_dwordx2 v[153:154], v[126:127], off offset:1312
	;; [unrolled: 1-line block ×4, first 2 shown]
	v_add_co_u32 v3, vcc_lo, v0, s6
	v_add_co_ci_u32_e32 v4, vcc_lo, s7, v1, vcc_lo
	s_clause 0x3
	global_load_dwordx2 v[141:142], v[124:125], off offset:1784
	global_load_dwordx2 v[134:135], v[122:123], off offset:576
	;; [unrolled: 1-line block ×4, first 2 shown]
	v_add_co_u32 v5, vcc_lo, v3, s6
	v_add_co_ci_u32_e32 v6, vcc_lo, s7, v4, vcc_lo
	s_clause 0x1
	global_load_dwordx2 v[9:10], v[0:1], off
	global_load_dwordx2 v[11:12], v[3:4], off
	v_add_co_u32 v7, vcc_lo, v5, s6
	v_add_co_ci_u32_e32 v8, vcc_lo, s7, v6, vcc_lo
	v_and_b32_e32 v2, 1, v2
	v_add_co_u32 v0, vcc_lo, v7, s6
	v_add_co_ci_u32_e32 v1, vcc_lo, s7, v8, vcc_lo
	s_clause 0x1
	global_load_dwordx2 v[13:14], v[5:6], off
	global_load_dwordx2 v[7:8], v[7:8], off
	v_add_co_u32 v3, vcc_lo, v0, s6
	v_add_co_ci_u32_e32 v4, vcc_lo, s7, v1, vcc_lo
	global_load_dwordx2 v[15:16], v[0:1], off
	v_add_co_u32 v0, vcc_lo, v3, s6
	v_add_co_ci_u32_e32 v1, vcc_lo, s7, v4, vcc_lo
	;; [unrolled: 3-line block ×8, first 2 shown]
	global_load_dwordx2 v[29:30], v[3:4], off
	s_clause 0x1
	global_load_dwordx2 v[137:138], v[120:121], off offset:1048
	global_load_dwordx2 v[139:140], v[120:121], off offset:1888
	global_load_dwordx2 v[31:32], v[0:1], off
	v_cmp_eq_u32_e32 vcc_lo, 1, v2
	s_load_dwordx2 s[2:3], s[4:5], 0x38
	s_load_dwordx4 s[8:11], s[10:11], 0x0
	v_cndmask_b32_e64 v2, 0, 0x555, vcc_lo
	v_cmp_gt_u16_e32 vcc_lo, 14, v37
	v_lshlrev_b32_e32 v165, 3, v2
	v_add_nc_u32_e32 v163, v165, v33
	v_add_nc_u32_e32 v3, 0xc00, v163
	;; [unrolled: 1-line block ×5, first 2 shown]
	s_waitcnt vmcnt(14)
	v_mul_f32_e32 v33, v10, v152
	v_mul_f32_e32 v6, v9, v152
	s_waitcnt vmcnt(13)
	v_mul_f32_e32 v35, v12, v144
	v_mul_f32_e32 v36, v11, v144
	v_fmac_f32_e32 v33, v9, v151
	v_fma_f32 v34, v10, v151, -v6
	v_fmac_f32_e32 v35, v11, v143
	v_fma_f32 v36, v12, v143, -v36
	v_add_nc_u32_e32 v6, 0x2000, v163
	s_waitcnt vmcnt(12)
	v_mul_f32_e32 v9, v14, v146
	v_mul_f32_e32 v10, v13, v146
	s_waitcnt vmcnt(11)
	v_mul_f32_e32 v11, v8, v156
	ds_write2_b64 v163, v[33:34], v[35:36] offset1:105
	v_mul_f32_e32 v12, v7, v156
	v_fmac_f32_e32 v9, v13, v145
	v_fma_f32 v10, v14, v145, -v10
	v_fmac_f32_e32 v11, v7, v155
	s_waitcnt vmcnt(10)
	v_mul_f32_e32 v7, v16, v154
	v_mul_f32_e32 v14, v15, v154
	v_fma_f32 v12, v8, v155, -v12
	s_waitcnt vmcnt(9)
	v_mul_f32_e32 v13, v18, v150
	v_mul_f32_e32 v33, v17, v150
	v_fmac_f32_e32 v7, v15, v153
	v_fma_f32 v8, v16, v153, -v14
	ds_write2_b64 v5, v[9:10], v[11:12] offset0:82 offset1:187
	v_fmac_f32_e32 v13, v17, v149
	v_fma_f32 v14, v18, v149, -v33
	s_waitcnt vmcnt(8)
	v_mul_f32_e32 v9, v20, v148
	v_mul_f32_e32 v10, v19, v148
	s_waitcnt vmcnt(7)
	v_mul_f32_e32 v11, v22, v142
	ds_write2_b64 v3, v[7:8], v[13:14] offset0:36 offset1:141
	v_mul_f32_e32 v8, v21, v142
	v_fmac_f32_e32 v9, v19, v147
	v_fma_f32 v10, v20, v147, -v10
	s_waitcnt vmcnt(6)
	v_mul_f32_e32 v7, v24, v135
	v_fmac_f32_e32 v11, v21, v141
	v_fma_f32 v12, v22, v141, -v8
	v_mul_f32_e32 v8, v23, v135
	s_waitcnt vmcnt(5)
	v_mul_f32_e32 v13, v26, v133
	v_mul_f32_e32 v14, v25, v133
	v_fmac_f32_e32 v7, v23, v134
	v_fma_f32 v8, v24, v134, -v8
	s_waitcnt vmcnt(4)
	v_mul_f32_e32 v15, v28, v131
	v_mul_f32_e32 v16, v27, v131
	v_fmac_f32_e32 v13, v25, v132
	s_waitcnt vmcnt(2)
	v_mul_f32_e32 v17, v30, v138
	v_mul_f32_e32 v18, v29, v138
	s_waitcnt vmcnt(0)
	v_mul_f32_e32 v19, v32, v140
	v_mul_f32_e32 v20, v31, v140
	v_fma_f32 v14, v26, v132, -v14
	v_fmac_f32_e32 v15, v27, v130
	v_fma_f32 v16, v28, v130, -v16
	v_fmac_f32_e32 v17, v29, v137
	v_fma_f32 v18, v30, v137, -v18
	v_fmac_f32_e32 v19, v31, v139
	v_fma_f32 v20, v32, v139, -v20
	ds_write2_b64 v2, v[9:10], v[11:12] offset0:118 offset1:223
	ds_write2_b64 v4, v[7:8], v[13:14] offset0:72 offset1:177
	;; [unrolled: 1-line block ×3, first 2 shown]
	ds_write_b64 v163, v[19:20] offset:10080
	s_and_saveexec_b32 s12, vcc_lo
	s_cbranch_execz .LBB0_3
; %bb.2:
	v_mad_u64_u32 v[0:1], null, 0xffffdb78, s0, v[0:1]
	s_mulk_i32 s1, 0xdb78
	s_clause 0x1
	global_load_dwordx2 v[11:12], v[128:129], off offset:728
	global_load_dwordx2 v[13:14], v[128:129], off offset:1568
	s_sub_i32 s0, s1, s0
	s_clause 0x2
	global_load_dwordx2 v[17:18], v[126:127], off offset:360
	global_load_dwordx2 v[19:20], v[126:127], off offset:1200
	;; [unrolled: 1-line block ×3, first 2 shown]
	v_add_nc_u32_e32 v59, 0x800, v163
	v_add_nc_u32_e32 v60, 0x1400, v163
	v_add_nc_u32_e32 v1, s0, v1
	v_add_co_u32 v7, s0, v0, s6
	v_add_nc_u32_e32 v61, 0x1c00, v163
	v_add_co_ci_u32_e64 v8, s0, s7, v1, s0
	v_add_co_u32 v9, s0, v7, s6
	global_load_dwordx2 v[0:1], v[0:1], off
	v_add_co_ci_u32_e64 v10, s0, s7, v8, s0
	v_add_co_u32 v15, s0, v9, s6
	v_add_co_ci_u32_e64 v16, s0, s7, v10, s0
	v_add_co_u32 v23, s0, v15, s6
	;; [unrolled: 2-line block ×3, first 2 shown]
	v_add_co_ci_u32_e64 v26, s0, s7, v24, s0
	global_load_dwordx2 v[7:8], v[7:8], off
	global_load_dwordx2 v[9:10], v[9:10], off
	;; [unrolled: 1-line block ×5, first 2 shown]
	v_add_co_u32 v25, s0, v25, s6
	v_add_co_ci_u32_e64 v26, s0, s7, v26, s0
	global_load_dwordx2 v[29:30], v[124:125], off offset:832
	v_add_co_u32 v31, s0, v25, s6
	v_add_co_ci_u32_e64 v32, s0, s7, v26, s0
	global_load_dwordx2 v[25:26], v[25:26], off
	v_add_co_u32 v33, s0, v31, s6
	v_add_co_ci_u32_e64 v34, s0, s7, v32, s0
	global_load_dwordx2 v[31:32], v[31:32], off
	v_add_co_u32 v35, s0, v33, s6
	v_add_co_ci_u32_e64 v36, s0, s7, v34, s0
	global_load_dwordx2 v[33:34], v[33:34], off
	v_add_co_u32 v37, s0, v35, s6
	v_add_co_ci_u32_e64 v38, s0, s7, v36, s0
	s_clause 0x2
	global_load_dwordx2 v[39:40], v[124:125], off offset:1672
	global_load_dwordx2 v[41:42], v[122:123], off offset:464
	;; [unrolled: 1-line block ×3, first 2 shown]
	global_load_dwordx2 v[35:36], v[35:36], off
	global_load_dwordx2 v[45:46], v[37:38], off
	s_clause 0x1
	global_load_dwordx2 v[47:48], v[120:121], off offset:96
	global_load_dwordx2 v[49:50], v[120:121], off offset:936
	v_add_co_u32 v37, s0, v37, s6
	v_add_co_ci_u32_e64 v38, s0, s7, v38, s0
	v_add_co_u32 v51, s0, 0x2800, v128
	v_add_co_ci_u32_e64 v52, s0, 0, v129, s0
	v_add_co_u32 v53, s0, v37, s6
	v_add_co_ci_u32_e64 v54, s0, s7, v38, s0
	global_load_dwordx2 v[37:38], v[37:38], off
	s_clause 0x1
	global_load_dwordx2 v[55:56], v[120:121], off offset:1776
	global_load_dwordx2 v[51:52], v[51:52], off offset:568
	global_load_dwordx2 v[53:54], v[53:54], off
	s_waitcnt vmcnt(20)
	v_mul_f32_e32 v57, v1, v12
	v_mul_f32_e32 v58, v0, v12
	v_fmac_f32_e32 v57, v0, v11
	v_fma_f32 v58, v1, v11, -v58
	s_waitcnt vmcnt(19)
	v_mul_f32_e32 v12, v8, v14
	v_mul_f32_e32 v1, v7, v14
	s_waitcnt vmcnt(18)
	v_mul_f32_e32 v0, v10, v18
	v_mul_f32_e32 v11, v9, v18
	s_waitcnt vmcnt(17)
	v_mul_f32_e32 v14, v15, v20
	v_fmac_f32_e32 v12, v7, v13
	v_mul_f32_e32 v7, v16, v20
	v_fma_f32 v13, v8, v13, -v1
	v_fmac_f32_e32 v0, v9, v17
	v_fma_f32 v1, v10, v17, -v11
	v_fma_f32 v8, v16, v19, -v14
	v_fmac_f32_e32 v7, v15, v19
	s_waitcnt vmcnt(16)
	v_mul_f32_e32 v9, v24, v22
	v_mul_f32_e32 v10, v23, v22
	s_waitcnt vmcnt(14)
	v_mul_f32_e32 v11, v28, v30
	ds_write2_b64 v163, v[57:58], v[12:13] offset0:91 offset1:196
	ds_write2_b64 v59, v[0:1], v[7:8] offset0:45 offset1:150
	v_mul_f32_e32 v1, v27, v30
	v_fmac_f32_e32 v9, v23, v21
	v_fma_f32 v10, v24, v21, -v10
	v_fmac_f32_e32 v11, v27, v29
	v_fma_f32 v12, v28, v29, -v1
	s_waitcnt vmcnt(10)
	v_mul_f32_e32 v8, v25, v40
	s_waitcnt vmcnt(9)
	v_mul_f32_e32 v14, v31, v42
	v_mul_f32_e32 v0, v26, v40
	;; [unrolled: 1-line block ×3, first 2 shown]
	s_waitcnt vmcnt(8)
	v_mul_f32_e32 v13, v34, v44
	v_fma_f32 v1, v26, v39, -v8
	v_fma_f32 v8, v32, v41, -v14
	v_mul_f32_e32 v14, v33, v44
	s_waitcnt vmcnt(5)
	v_mul_f32_e32 v15, v36, v48
	v_mul_f32_e32 v16, v35, v48
	s_waitcnt vmcnt(4)
	v_mul_f32_e32 v17, v46, v50
	v_mul_f32_e32 v18, v45, v50
	v_fmac_f32_e32 v0, v25, v39
	v_fmac_f32_e32 v7, v31, v41
	;; [unrolled: 1-line block ×3, first 2 shown]
	v_fma_f32 v14, v34, v43, -v14
	v_fmac_f32_e32 v15, v35, v47
	s_waitcnt vmcnt(2)
	v_mul_f32_e32 v19, v38, v56
	v_mul_f32_e32 v20, v37, v56
	s_waitcnt vmcnt(0)
	v_mul_f32_e32 v21, v54, v52
	v_mul_f32_e32 v22, v53, v52
	v_fma_f32 v16, v36, v47, -v16
	v_fmac_f32_e32 v17, v45, v49
	v_fma_f32 v18, v46, v49, -v18
	v_fmac_f32_e32 v19, v37, v55
	;; [unrolled: 2-line block ×3, first 2 shown]
	v_fma_f32 v22, v54, v51, -v22
	ds_write2_b64 v3, v[9:10], v[11:12] offset0:127 offset1:232
	ds_write2_b64 v60, v[0:1], v[7:8] offset0:81 offset1:186
	;; [unrolled: 1-line block ×4, first 2 shown]
	ds_write_b64 v163, v[21:22] offset:10808
.LBB0_3:
	s_or_b32 exec_lo, exec_lo, s12
	s_waitcnt lgkmcnt(0)
	s_barrier
	buffer_gl0_inv
	ds_read2_b64 v[44:47], v163 offset1:105
	ds_read2_b64 v[36:39], v5 offset0:82 offset1:187
	ds_read2_b64 v[28:31], v3 offset0:36 offset1:141
	;; [unrolled: 1-line block ×5, first 2 shown]
	ds_read_b64 v[50:51], v163 offset:10080
	v_mov_b32_e32 v0, 0
	v_mov_b32_e32 v1, 0
                                        ; implicit-def: $vgpr14
                                        ; implicit-def: $vgpr8
                                        ; implicit-def: $vgpr4
                                        ; implicit-def: $vgpr48
                                        ; implicit-def: $vgpr18
                                        ; implicit-def: $vgpr22
	s_and_saveexec_b32 s0, vcc_lo
	s_cbranch_execz .LBB0_5
; %bb.4:
	v_add_nc_u32_e32 v4, 0x800, v163
	v_add_nc_u32_e32 v5, 0xc00, v163
	;; [unrolled: 1-line block ×5, first 2 shown]
	ds_read2_b64 v[0:3], v163 offset0:91 offset1:196
	ds_read2_b64 v[20:23], v4 offset0:45 offset1:150
	;; [unrolled: 1-line block ×6, first 2 shown]
	ds_read_b64 v[48:49], v163 offset:10808
.LBB0_5:
	s_or_b32 exec_lo, exec_lo, s0
	s_waitcnt lgkmcnt(6)
	v_add_f32_e32 v52, v44, v46
	v_add_f32_e32 v53, v45, v47
	s_waitcnt lgkmcnt(0)
	v_sub_f32_e32 v55, v47, v51
	v_add_co_u32 v92, s0, 0x5b, v164
	v_add_f32_e32 v52, v52, v36
	v_add_f32_e32 v53, v53, v37
	v_add_co_ci_u32_e64 v54, null, 0, 0, s0
	v_add_f32_e32 v54, v50, v46
	v_add_f32_e32 v52, v52, v38
	;; [unrolled: 1-line block ×3, first 2 shown]
	v_sub_f32_e32 v46, v46, v50
	v_mul_f32_e32 v56, 0xbeedf032, v55
	v_sub_f32_e32 v75, v37, v43
	v_add_f32_e32 v52, v52, v28
	v_add_f32_e32 v53, v53, v29
	;; [unrolled: 1-line block ×3, first 2 shown]
	v_mul_f32_e32 v57, 0xbeedf032, v46
	v_mul_f32_e32 v59, 0xbf52af12, v46
	v_add_f32_e32 v52, v52, v30
	v_add_f32_e32 v53, v53, v31
	v_mul_f32_e32 v61, 0xbf7e222b, v46
	v_fma_f32 v62, 0x3f62ad3f, v54, -v56
	v_mul_f32_e32 v68, 0xbf6f5d39, v46
	v_add_f32_e32 v52, v52, v24
	v_add_f32_e32 v53, v53, v25
	v_mul_f32_e32 v71, 0xbf29c268, v46
	v_mul_f32_e32 v46, 0xbe750f2a, v46
	v_add_f32_e32 v77, v42, v36
	v_add_f32_e32 v52, v52, v26
	;; [unrolled: 1-line block ×3, first 2 shown]
	v_mul_f32_e32 v78, 0xbf52af12, v75
	v_sub_f32_e32 v36, v36, v42
	v_mul_f32_e32 v58, 0xbf52af12, v55
	v_add_f32_e32 v52, v52, v32
	v_add_f32_e32 v53, v53, v33
	v_mul_f32_e32 v60, 0xbf7e222b, v55
	v_fmamk_f32 v63, v47, 0x3f62ad3f, v57
	v_fma_f32 v57, 0x3f62ad3f, v47, -v57
	v_add_f32_e32 v52, v52, v34
	v_add_f32_e32 v53, v53, v35
	v_fmamk_f32 v65, v47, 0x3f116cb1, v59
	v_fma_f32 v59, 0x3f116cb1, v47, -v59
	v_add_f32_e32 v62, v44, v62
	v_add_f32_e32 v52, v52, v40
	;; [unrolled: 1-line block ×3, first 2 shown]
	v_mul_f32_e32 v69, 0xbf29c268, v55
	v_fmamk_f32 v70, v47, 0xbeb58ec6, v68
	v_fma_f32 v68, 0xbeb58ec6, v47, -v68
	v_add_f32_e32 v52, v52, v42
	v_add_f32_e32 v53, v53, v43
	v_fmamk_f32 v73, v47, 0xbf3f9e67, v71
	v_fma_f32 v71, 0xbf3f9e67, v47, -v71
	v_fmamk_f32 v76, v47, 0xbf788fa5, v46
	v_add_f32_e32 v50, v52, v50
	v_add_f32_e32 v51, v53, v51
	v_mul_f32_e32 v52, 0xbf6f5d39, v55
	v_fmamk_f32 v53, v47, 0x3df6dbef, v61
	v_fma_f32 v61, 0x3df6dbef, v47, -v61
	v_mul_f32_e32 v55, 0xbe750f2a, v55
	v_fma_f32 v42, 0xbf788fa5, v47, -v46
	v_fma_f32 v46, 0x3f116cb1, v77, -v78
	v_add_f32_e32 v37, v43, v37
	v_mul_f32_e32 v43, 0xbf52af12, v36
	v_fmac_f32_e32 v56, 0x3f62ad3f, v54
	v_fma_f32 v64, 0x3f116cb1, v54, -v58
	v_fmac_f32_e32 v58, 0x3f116cb1, v54
	v_fma_f32 v66, 0x3df6dbef, v54, -v60
	v_add_f32_e32 v63, v45, v63
	v_add_f32_e32 v57, v45, v57
	;; [unrolled: 1-line block ×4, first 2 shown]
	v_fmac_f32_e32 v60, 0x3df6dbef, v54
	v_fma_f32 v67, 0xbeb58ec6, v54, -v52
	v_add_f32_e32 v53, v45, v53
	v_add_f32_e32 v61, v45, v61
	v_fmac_f32_e32 v52, 0xbeb58ec6, v54
	v_fma_f32 v72, 0xbf3f9e67, v54, -v69
	v_add_f32_e32 v70, v45, v70
	v_add_f32_e32 v68, v45, v68
	v_fmac_f32_e32 v69, 0xbf3f9e67, v54
	v_add_f32_e32 v73, v45, v73
	v_fma_f32 v74, 0xbf788fa5, v54, -v55
	v_add_f32_e32 v71, v45, v71
	v_add_f32_e32 v76, v45, v76
	v_fmac_f32_e32 v55, 0xbf788fa5, v54
	v_add_f32_e32 v42, v45, v42
	v_add_f32_e32 v45, v46, v62
	v_mul_f32_e32 v46, 0xbf6f5d39, v75
	v_fmamk_f32 v47, v37, 0x3f116cb1, v43
	v_fma_f32 v43, 0x3f116cb1, v37, -v43
	v_mul_f32_e32 v54, 0xbf6f5d39, v36
	v_add_f32_e32 v56, v44, v56
	v_add_f32_e32 v64, v44, v64
	;; [unrolled: 1-line block ×11, first 2 shown]
	v_fma_f32 v55, 0xbeb58ec6, v77, -v46
	v_add_f32_e32 v47, v47, v63
	v_add_f32_e32 v43, v43, v57
	v_fmamk_f32 v57, v37, 0xbeb58ec6, v54
	v_fmac_f32_e32 v46, 0xbeb58ec6, v77
	v_fma_f32 v54, 0xbeb58ec6, v37, -v54
	v_mul_f32_e32 v63, 0xbe750f2a, v36
	v_mul_f32_e32 v62, 0xbe750f2a, v75
	v_add_f32_e32 v55, v55, v64
	v_add_f32_e32 v46, v46, v58
	v_add_f32_e32 v54, v54, v59
	v_mul_f32_e32 v58, 0x3f29c268, v75
	v_fmamk_f32 v59, v37, 0xbf788fa5, v63
	v_fma_f32 v63, 0xbf788fa5, v37, -v63
	v_add_f32_e32 v57, v57, v65
	v_fma_f32 v64, 0xbf788fa5, v77, -v62
	v_fmac_f32_e32 v62, 0xbf788fa5, v77
	v_fma_f32 v65, 0xbf3f9e67, v77, -v58
	v_add_f32_e32 v61, v63, v61
	v_mul_f32_e32 v63, 0x3f7e222b, v75
	v_add_f32_e32 v64, v64, v66
	v_add_f32_e32 v53, v59, v53
	v_mul_f32_e32 v59, 0x3f29c268, v36
	v_add_f32_e32 v60, v62, v60
	v_add_f32_e32 v62, v65, v67
	v_fmac_f32_e32 v58, 0xbf3f9e67, v77
	v_mul_f32_e32 v66, 0x3f7e222b, v36
	v_fma_f32 v67, 0x3df6dbef, v77, -v63
	v_fmac_f32_e32 v63, 0x3df6dbef, v77
	v_fmamk_f32 v65, v37, 0xbf3f9e67, v59
	v_fma_f32 v59, 0xbf3f9e67, v37, -v59
	v_add_f32_e32 v52, v58, v52
	v_fmamk_f32 v58, v37, 0x3df6dbef, v66
	v_fma_f32 v66, 0x3df6dbef, v37, -v66
	v_add_f32_e32 v63, v63, v69
	v_sub_f32_e32 v69, v39, v41
	v_add_f32_e32 v59, v59, v68
	v_mul_f32_e32 v68, 0x3eedf032, v75
	v_add_f32_e32 v58, v58, v73
	v_mul_f32_e32 v36, 0x3eedf032, v36
	v_add_f32_e32 v66, v66, v71
	v_add_f32_e32 v71, v40, v38
	v_mul_f32_e32 v73, 0xbf7e222b, v69
	v_sub_f32_e32 v38, v38, v40
	v_add_f32_e32 v65, v65, v70
	v_add_f32_e32 v67, v67, v72
	v_fma_f32 v70, 0x3f62ad3f, v77, -v68
	v_fmamk_f32 v72, v37, 0x3f62ad3f, v36
	v_fmac_f32_e32 v68, 0x3f62ad3f, v77
	v_fma_f32 v36, 0x3f62ad3f, v37, -v36
	v_fma_f32 v37, 0x3df6dbef, v71, -v73
	v_add_f32_e32 v39, v41, v39
	v_mul_f32_e32 v40, 0xbf7e222b, v38
	v_fmac_f32_e32 v78, 0x3f116cb1, v77
	v_add_f32_e32 v41, v68, v44
	v_add_f32_e32 v37, v37, v45
	v_mul_f32_e32 v45, 0xbe750f2a, v38
	v_fmamk_f32 v44, v39, 0x3df6dbef, v40
	v_fma_f32 v40, 0x3df6dbef, v39, -v40
	v_add_f32_e32 v56, v78, v56
	v_add_f32_e32 v36, v36, v42
	v_mul_f32_e32 v42, 0xbe750f2a, v69
	v_fmac_f32_e32 v73, 0x3df6dbef, v71
	v_add_f32_e32 v40, v40, v43
	v_fmamk_f32 v43, v39, 0xbf788fa5, v45
	v_add_f32_e32 v44, v44, v47
	v_fma_f32 v68, 0xbf788fa5, v71, -v42
	v_add_f32_e32 v47, v73, v56
	v_mul_f32_e32 v56, 0x3f6f5d39, v69
	v_fmac_f32_e32 v42, 0xbf788fa5, v71
	v_fma_f32 v45, 0xbf788fa5, v39, -v45
	v_add_f32_e32 v43, v43, v57
	v_mul_f32_e32 v57, 0x3f6f5d39, v38
	v_add_f32_e32 v55, v68, v55
	v_fma_f32 v68, 0xbeb58ec6, v71, -v56
	v_add_f32_e32 v42, v42, v46
	v_add_f32_e32 v45, v45, v54
	v_mul_f32_e32 v46, 0x3eedf032, v69
	v_fmamk_f32 v54, v39, 0xbeb58ec6, v57
	v_add_f32_e32 v64, v68, v64
	v_fmac_f32_e32 v56, 0xbeb58ec6, v71
	v_fma_f32 v57, 0xbeb58ec6, v39, -v57
	v_fma_f32 v68, 0x3f62ad3f, v71, -v46
	v_add_f32_e32 v53, v54, v53
	v_mul_f32_e32 v54, 0x3eedf032, v38
	v_add_f32_e32 v56, v56, v60
	v_add_f32_e32 v57, v57, v61
	;; [unrolled: 1-line block ×3, first 2 shown]
	v_mul_f32_e32 v61, 0xbf52af12, v69
	v_fmamk_f32 v62, v39, 0x3f62ad3f, v54
	v_fmac_f32_e32 v46, 0x3f62ad3f, v71
	v_mul_f32_e32 v68, 0xbf52af12, v38
	v_fma_f32 v54, 0x3f62ad3f, v39, -v54
	v_fma_f32 v73, 0x3f116cb1, v71, -v61
	v_add_f32_e32 v62, v62, v65
	v_add_f32_e32 v46, v46, v52
	v_fmamk_f32 v52, v39, 0x3f116cb1, v68
	v_mul_f32_e32 v65, 0xbf29c268, v69
	v_fmac_f32_e32 v61, 0x3f116cb1, v71
	v_add_f32_e32 v70, v70, v74
	v_add_f32_e32 v54, v54, v59
	;; [unrolled: 1-line block ×4, first 2 shown]
	v_fma_f32 v58, 0x3f116cb1, v39, -v68
	v_fma_f32 v67, 0xbf3f9e67, v71, -v65
	v_add_f32_e32 v61, v61, v63
	v_sub_f32_e32 v63, v29, v35
	v_mul_f32_e32 v38, 0xbf29c268, v38
	v_add_f32_e32 v58, v58, v66
	v_add_f32_e32 v66, v67, v70
	;; [unrolled: 1-line block ×3, first 2 shown]
	v_mul_f32_e32 v69, 0xbf6f5d39, v63
	v_sub_f32_e32 v28, v28, v34
	v_fmamk_f32 v68, v39, 0xbf3f9e67, v38
	v_fmac_f32_e32 v65, 0xbf3f9e67, v71
	v_fma_f32 v34, 0xbf3f9e67, v39, -v38
	v_fma_f32 v38, 0xbeb58ec6, v67, -v69
	v_add_f32_e32 v29, v35, v29
	v_mul_f32_e32 v35, 0xbf6f5d39, v28
	v_add_f32_e32 v39, v65, v41
	v_add_f32_e32 v34, v34, v36
	;; [unrolled: 1-line block ×3, first 2 shown]
	v_mul_f32_e32 v37, 0x3f29c268, v63
	v_fmamk_f32 v38, v29, 0xbeb58ec6, v35
	v_fma_f32 v35, 0xbeb58ec6, v29, -v35
	v_mul_f32_e32 v41, 0x3f29c268, v28
	v_fmac_f32_e32 v69, 0xbeb58ec6, v67
	v_fma_f32 v65, 0xbf3f9e67, v67, -v37
	v_add_f32_e32 v38, v38, v44
	v_add_f32_e32 v35, v35, v40
	v_fmamk_f32 v40, v29, 0xbf3f9e67, v41
	v_add_f32_e32 v44, v69, v47
	v_add_f32_e32 v47, v65, v55
	v_mul_f32_e32 v55, 0x3eedf032, v63
	v_fmac_f32_e32 v37, 0xbf3f9e67, v67
	v_fma_f32 v41, 0xbf3f9e67, v29, -v41
	v_add_f32_e32 v40, v40, v43
	v_mul_f32_e32 v43, 0x3eedf032, v28
	v_fma_f32 v65, 0x3f62ad3f, v67, -v55
	v_add_f32_e32 v37, v37, v42
	v_add_f32_e32 v41, v41, v45
	v_mul_f32_e32 v42, 0xbf7e222b, v63
	v_fmamk_f32 v45, v29, 0x3f62ad3f, v43
	v_fma_f32 v43, 0x3f62ad3f, v29, -v43
	v_add_f32_e32 v64, v65, v64
	v_fmac_f32_e32 v55, 0x3f62ad3f, v67
	v_fma_f32 v65, 0x3df6dbef, v67, -v42
	v_add_f32_e32 v45, v45, v53
	v_mul_f32_e32 v53, 0xbf7e222b, v28
	v_add_f32_e32 v43, v43, v57
	v_mul_f32_e32 v57, 0x3e750f2a, v63
	v_add_f32_e32 v55, v55, v56
	v_add_f32_e32 v56, v65, v60
	v_fmamk_f32 v60, v29, 0x3df6dbef, v53
	v_fmac_f32_e32 v42, 0x3df6dbef, v67
	v_mul_f32_e32 v65, 0x3e750f2a, v28
	v_fma_f32 v53, 0x3df6dbef, v29, -v53
	v_fma_f32 v69, 0xbf788fa5, v67, -v57
	v_fmac_f32_e32 v57, 0xbf788fa5, v67
	v_add_f32_e32 v42, v42, v46
	v_fmamk_f32 v46, v29, 0xbf788fa5, v65
	v_add_f32_e32 v53, v53, v54
	v_add_f32_e32 v54, v69, v59
	v_mul_f32_e32 v59, 0x3f52af12, v63
	v_add_f32_e32 v60, v60, v62
	v_add_f32_e32 v46, v46, v52
	v_fma_f32 v52, 0xbf788fa5, v29, -v65
	v_add_f32_e32 v57, v57, v61
	v_fma_f32 v62, 0x3f116cb1, v67, -v59
	v_sub_f32_e32 v61, v31, v33
	v_mul_f32_e32 v28, 0x3f52af12, v28
	v_add_f32_e32 v52, v52, v58
	v_fmac_f32_e32 v59, 0x3f116cb1, v67
	v_add_f32_e32 v58, v62, v66
	v_add_f32_e32 v62, v32, v30
	v_mul_f32_e32 v65, 0xbf29c268, v61
	v_sub_f32_e32 v30, v30, v32
	v_fmamk_f32 v63, v29, 0x3f116cb1, v28
	v_fma_f32 v28, 0x3f116cb1, v29, -v28
	v_add_f32_e32 v31, v33, v31
	v_fma_f32 v29, 0xbf3f9e67, v62, -v65
	v_mul_f32_e32 v32, 0xbf29c268, v30
	v_add_f32_e32 v33, v59, v39
	v_add_f32_e32 v28, v28, v34
	v_mul_f32_e32 v34, 0x3f7e222b, v61
	v_add_f32_e32 v29, v29, v36
	v_fmamk_f32 v36, v31, 0xbf3f9e67, v32
	v_fma_f32 v32, 0xbf3f9e67, v31, -v32
	v_mul_f32_e32 v39, 0x3f7e222b, v30
	v_fmac_f32_e32 v65, 0xbf3f9e67, v62
	v_fma_f32 v59, 0x3df6dbef, v62, -v34
	v_add_f32_e32 v36, v36, v38
	v_add_f32_e32 v32, v32, v35
	v_fmamk_f32 v35, v31, 0x3df6dbef, v39
	v_add_f32_e32 v38, v65, v44
	v_add_f32_e32 v44, v59, v47
	v_mul_f32_e32 v47, 0xbf52af12, v61
	v_fmac_f32_e32 v34, 0x3df6dbef, v62
	v_fma_f32 v39, 0x3df6dbef, v31, -v39
	v_add_f32_e32 v35, v35, v40
	v_mul_f32_e32 v40, 0xbf52af12, v30
	v_fma_f32 v59, 0x3f116cb1, v62, -v47
	v_add_f32_e32 v34, v34, v37
	v_add_f32_e32 v37, v39, v41
	v_mul_f32_e32 v39, 0x3e750f2a, v61
	v_fmamk_f32 v41, v31, 0x3f116cb1, v40
	v_fmac_f32_e32 v47, 0x3f116cb1, v62
	v_add_f32_e32 v59, v59, v64
	v_fma_f32 v40, 0x3f116cb1, v31, -v40
	v_fma_f32 v64, 0xbf788fa5, v62, -v39
	v_add_f32_e32 v41, v41, v45
	v_mul_f32_e32 v45, 0x3e750f2a, v30
	v_add_f32_e32 v47, v47, v55
	v_mul_f32_e32 v55, 0x3eedf032, v61
	v_add_f32_e32 v72, v72, v76
	v_add_f32_e32 v40, v40, v43
	;; [unrolled: 1-line block ×3, first 2 shown]
	v_fmamk_f32 v56, v31, 0xbf788fa5, v45
	v_fmac_f32_e32 v39, 0xbf788fa5, v62
	v_mul_f32_e32 v64, 0x3eedf032, v30
	v_fma_f32 v45, 0xbf788fa5, v31, -v45
	v_fma_f32 v65, 0x3f62ad3f, v62, -v55
	v_add_f32_e32 v68, v68, v72
	v_add_f32_e32 v42, v39, v42
	v_fmamk_f32 v39, v31, 0x3f62ad3f, v64
	v_add_f32_e32 v45, v45, v53
	v_add_f32_e32 v53, v65, v54
	v_mul_f32_e32 v54, 0xbf6f5d39, v61
	v_fmac_f32_e32 v55, 0x3f62ad3f, v62
	v_mul_f32_e32 v30, 0xbf6f5d39, v30
	v_add_f32_e32 v63, v63, v68
	v_add_f32_e32 v56, v56, v60
	;; [unrolled: 1-line block ×3, first 2 shown]
	v_fma_f32 v39, 0x3f62ad3f, v31, -v64
	v_fma_f32 v60, 0xbeb58ec6, v62, -v54
	v_add_f32_e32 v55, v55, v57
	v_sub_f32_e32 v57, v25, v27
	v_fmamk_f32 v61, v31, 0xbeb58ec6, v30
	v_add_f32_e32 v52, v39, v52
	v_add_f32_e32 v58, v60, v58
	;; [unrolled: 1-line block ×3, first 2 shown]
	v_mul_f32_e32 v39, 0xbe750f2a, v57
	v_add_f32_e32 v61, v61, v63
	v_sub_f32_e32 v63, v24, v26
	v_fmac_f32_e32 v54, 0xbeb58ec6, v62
	v_fma_f32 v24, 0xbeb58ec6, v31, -v30
	v_fma_f32 v26, 0xbf788fa5, v60, -v39
	v_add_f32_e32 v62, v27, v25
	v_mul_f32_e32 v25, 0xbe750f2a, v63
	v_add_f32_e32 v54, v54, v33
	v_add_f32_e32 v64, v24, v28
	;; [unrolled: 1-line block ×3, first 2 shown]
	v_mul_f32_e32 v28, 0x3eedf032, v57
	v_fmamk_f32 v24, v62, 0xbf788fa5, v25
	v_fma_f32 v25, 0xbf788fa5, v62, -v25
	v_mul_f32_e32 v29, 0x3eedf032, v63
	v_mul_f32_e32 v33, 0xbf29c268, v63
	v_fma_f32 v30, 0x3f62ad3f, v60, -v28
	v_fmac_f32_e32 v28, 0x3f62ad3f, v60
	v_add_f32_e32 v25, v25, v32
	v_fmamk_f32 v31, v62, 0x3f62ad3f, v29
	v_mul_f32_e32 v32, 0xbf29c268, v57
	v_fma_f32 v29, 0x3f62ad3f, v62, -v29
	v_fmac_f32_e32 v39, 0xbf788fa5, v60
	v_add_f32_e32 v28, v28, v34
	v_add_f32_e32 v31, v31, v35
	v_fma_f32 v35, 0xbf3f9e67, v60, -v32
	v_add_f32_e32 v29, v29, v37
	v_mul_f32_e32 v34, 0x3f52af12, v57
	v_fmamk_f32 v37, v62, 0xbf3f9e67, v33
	v_fma_f32 v33, 0xbf3f9e67, v62, -v33
	v_add_f32_e32 v27, v24, v36
	v_add_f32_e32 v24, v39, v38
	;; [unrolled: 1-line block ×3, first 2 shown]
	v_fma_f32 v35, 0x3f116cb1, v60, -v34
	v_mul_f32_e32 v39, 0x3f52af12, v63
	v_add_f32_e32 v33, v33, v40
	v_mul_f32_e32 v40, 0xbf6f5d39, v57
	v_add_f32_e32 v30, v30, v44
	v_fmac_f32_e32 v32, 0xbf3f9e67, v60
	v_add_f32_e32 v37, v37, v41
	v_add_f32_e32 v38, v35, v43
	v_fmamk_f32 v35, v62, 0x3f116cb1, v39
	v_fmac_f32_e32 v34, 0x3f116cb1, v60
	v_mul_f32_e32 v41, 0xbf6f5d39, v63
	v_fma_f32 v43, 0x3f116cb1, v62, -v39
	v_fma_f32 v44, 0xbeb58ec6, v60, -v40
	v_add_f32_e32 v32, v32, v47
	v_add_f32_e32 v39, v35, v56
	;; [unrolled: 1-line block ×3, first 2 shown]
	v_fmamk_f32 v47, v62, 0xbeb58ec6, v41
	v_add_f32_e32 v35, v43, v45
	v_add_f32_e32 v42, v44, v53
	v_mul_f32_e32 v44, 0x3f7e222b, v57
	v_mul_f32_e32 v45, 0x3f7e222b, v63
	v_add_f32_e32 v43, v47, v46
	v_fma_f32 v41, 0xbeb58ec6, v62, -v41
	v_sub_f32_e32 v47, v3, v49
	v_fma_f32 v46, 0x3df6dbef, v60, -v44
	v_fmamk_f32 v53, v62, 0x3df6dbef, v45
	v_fmac_f32_e32 v40, 0xbeb58ec6, v60
	v_add_f32_e32 v41, v41, v52
	v_mul_f32_e32 v52, 0xbeedf032, v47
	v_add_f32_e32 v56, v46, v58
	v_add_f32_e32 v46, v48, v2
	;; [unrolled: 1-line block ×3, first 2 shown]
	v_sub_f32_e32 v53, v2, v48
	v_add_f32_e32 v40, v40, v55
	v_fmac_f32_e32 v44, 0x3df6dbef, v60
	v_fma_f32 v45, 0x3df6dbef, v62, -v45
	v_fma_f32 v55, 0x3f62ad3f, v46, -v52
	v_add_f32_e32 v60, v49, v3
	v_mul_f32_e32 v61, 0xbeedf032, v53
	v_sub_f32_e32 v77, v21, v7
	v_add_f32_e32 v58, v44, v54
	v_add_f32_e32 v59, v45, v64
	;; [unrolled: 1-line block ×3, first 2 shown]
	v_mul_f32_e32 v45, 0xbf52af12, v47
	v_fmamk_f32 v54, v60, 0x3f62ad3f, v61
	v_fma_f32 v55, 0x3f62ad3f, v60, -v61
	v_mul_f32_e32 v61, 0xbf52af12, v53
	v_mul_f32_e32 v64, 0xbf7e222b, v47
	;; [unrolled: 1-line block ×9, first 2 shown]
	v_add_f32_e32 v79, v6, v20
	v_mul_f32_e32 v80, 0xbf52af12, v77
	v_sub_f32_e32 v81, v20, v6
	v_fmac_f32_e32 v52, 0x3f62ad3f, v46
	v_fma_f32 v62, 0x3f116cb1, v46, -v45
	v_fmamk_f32 v63, v60, 0x3f116cb1, v61
	v_fmac_f32_e32 v45, 0x3f116cb1, v46
	v_fma_f32 v61, 0x3f116cb1, v60, -v61
	v_fma_f32 v66, 0x3df6dbef, v46, -v64
	v_fmamk_f32 v68, v60, 0x3df6dbef, v65
	v_fmac_f32_e32 v64, 0x3df6dbef, v46
	v_fma_f32 v65, 0x3df6dbef, v60, -v65
	v_fma_f32 v69, 0xbeb58ec6, v46, -v67
	v_fmamk_f32 v72, v60, 0xbeb58ec6, v70
	v_fmac_f32_e32 v67, 0xbeb58ec6, v46
	v_fma_f32 v70, 0xbeb58ec6, v60, -v70
	v_fma_f32 v74, 0xbf3f9e67, v46, -v71
	v_fmamk_f32 v75, v60, 0xbf3f9e67, v73
	v_fmac_f32_e32 v71, 0xbf3f9e67, v46
	v_fma_f32 v73, 0xbf3f9e67, v60, -v73
	v_fma_f32 v76, 0xbf788fa5, v46, -v47
	v_fmamk_f32 v78, v60, 0xbf788fa5, v53
	v_fmac_f32_e32 v47, 0xbf788fa5, v46
	v_fma_f32 v46, 0xbf788fa5, v60, -v53
	v_fma_f32 v53, 0x3f116cb1, v79, -v80
	v_add_f32_e32 v60, v7, v21
	v_mul_f32_e32 v82, 0xbf52af12, v81
	v_add_f32_e32 v54, v54, v1
	v_add_f32_e32 v55, v55, v1
	;; [unrolled: 1-line block ×3, first 2 shown]
	v_mul_f32_e32 v53, 0xbf6f5d39, v77
	v_fmamk_f32 v83, v60, 0x3f116cb1, v82
	v_fma_f32 v82, 0x3f116cb1, v60, -v82
	v_mul_f32_e32 v84, 0xbf6f5d39, v81
	v_add_f32_e32 v52, v52, v0
	v_add_f32_e32 v45, v45, v0
	;; [unrolled: 1-line block ×3, first 2 shown]
	v_fmac_f32_e32 v80, 0x3f116cb1, v79
	v_fma_f32 v85, 0xbeb58ec6, v79, -v53
	v_add_f32_e32 v54, v83, v54
	v_add_f32_e32 v55, v82, v55
	v_mul_f32_e32 v82, 0xbe750f2a, v77
	v_fmac_f32_e32 v53, 0xbeb58ec6, v79
	v_fma_f32 v83, 0xbeb58ec6, v60, -v84
	v_add_f32_e32 v63, v63, v1
	v_add_f32_e32 v66, v66, v0
	;; [unrolled: 1-line block ×3, first 2 shown]
	v_fmamk_f32 v80, v60, 0xbeb58ec6, v84
	v_fma_f32 v84, 0xbf788fa5, v79, -v82
	v_add_f32_e32 v45, v53, v45
	v_add_f32_e32 v53, v83, v61
	v_mul_f32_e32 v61, 0x3f29c268, v77
	v_add_f32_e32 v69, v69, v0
	v_add_f32_e32 v63, v80, v63
	v_mul_f32_e32 v80, 0xbe750f2a, v81
	v_add_f32_e32 v66, v84, v66
	v_fma_f32 v84, 0xbf3f9e67, v79, -v61
	v_add_f32_e32 v68, v68, v1
	v_add_f32_e32 v65, v65, v1
	;; [unrolled: 1-line block ×3, first 2 shown]
	v_fmamk_f32 v83, v60, 0xbf788fa5, v80
	v_fma_f32 v80, 0xbf788fa5, v60, -v80
	v_add_f32_e32 v69, v84, v69
	v_fmac_f32_e32 v61, 0xbf3f9e67, v79
	v_mul_f32_e32 v84, 0x3f7e222b, v81
	v_add_f32_e32 v62, v62, v0
	v_add_f32_e32 v64, v64, v0
	;; [unrolled: 1-line block ×3, first 2 shown]
	v_fmac_f32_e32 v82, 0xbf788fa5, v79
	v_add_f32_e32 v68, v83, v68
	v_mul_f32_e32 v83, 0x3f29c268, v81
	v_add_f32_e32 v65, v80, v65
	v_mul_f32_e32 v80, 0x3f7e222b, v77
	v_add_f32_e32 v61, v61, v67
	v_fmamk_f32 v67, v60, 0x3df6dbef, v84
	v_add_f32_e32 v72, v72, v1
	v_add_f32_e32 v70, v70, v1
	;; [unrolled: 1-line block ×5, first 2 shown]
	v_fmamk_f32 v82, v60, 0xbf3f9e67, v83
	v_fma_f32 v83, 0xbf3f9e67, v60, -v83
	v_fma_f32 v85, 0x3df6dbef, v79, -v80
	v_mul_f32_e32 v77, 0x3eedf032, v77
	v_fmac_f32_e32 v80, 0x3df6dbef, v79
	v_add_f32_e32 v67, v67, v75
	v_mul_f32_e32 v75, 0x3eedf032, v81
	v_add_f32_e32 v73, v73, v1
	v_add_f32_e32 v76, v76, v0
	;; [unrolled: 1-line block ×5, first 2 shown]
	v_fma_f32 v81, 0x3df6dbef, v60, -v84
	v_fma_f32 v82, 0x3f62ad3f, v79, -v77
	v_add_f32_e32 v71, v80, v71
	v_sub_f32_e32 v80, v23, v5
	v_fmamk_f32 v83, v60, 0x3f62ad3f, v75
	v_add_f32_e32 v73, v81, v73
	v_add_f32_e32 v76, v82, v76
	;; [unrolled: 1-line block ×3, first 2 shown]
	v_mul_f32_e32 v82, 0xbf7e222b, v80
	v_add_f32_e32 v78, v83, v78
	v_sub_f32_e32 v83, v22, v4
	v_add_f32_e32 v47, v47, v0
	v_add_f32_e32 v46, v46, v1
	v_fmac_f32_e32 v77, 0x3f62ad3f, v79
	v_fma_f32 v60, 0x3f62ad3f, v60, -v75
	v_fma_f32 v75, 0x3df6dbef, v81, -v82
	v_add_f32_e32 v79, v5, v23
	v_mul_f32_e32 v84, 0xbf7e222b, v83
	v_add_f32_e32 v74, v74, v0
	v_add_f32_e32 v47, v77, v47
	;; [unrolled: 1-line block ×4, first 2 shown]
	v_mul_f32_e32 v60, 0xbe750f2a, v80
	v_fmamk_f32 v75, v79, 0x3df6dbef, v84
	v_fma_f32 v77, 0x3df6dbef, v79, -v84
	v_mul_f32_e32 v84, 0xbe750f2a, v83
	v_add_f32_e32 v74, v85, v74
	v_fmac_f32_e32 v82, 0x3df6dbef, v81
	v_fma_f32 v85, 0xbf788fa5, v81, -v60
	v_add_f32_e32 v54, v75, v54
	v_add_f32_e32 v55, v77, v55
	v_fmamk_f32 v75, v79, 0xbf788fa5, v84
	v_mul_f32_e32 v77, 0x3f6f5d39, v80
	v_fmac_f32_e32 v60, 0xbf788fa5, v81
	v_add_f32_e32 v52, v82, v52
	v_fma_f32 v82, 0xbf788fa5, v79, -v84
	v_add_f32_e32 v63, v75, v63
	v_mul_f32_e32 v75, 0x3f6f5d39, v83
	v_fma_f32 v84, 0xbeb58ec6, v81, -v77
	v_add_f32_e32 v45, v60, v45
	v_mul_f32_e32 v60, 0x3eedf032, v80
	v_add_f32_e32 v53, v82, v53
	v_fmamk_f32 v82, v79, 0xbeb58ec6, v75
	v_add_f32_e32 v66, v84, v66
	v_fmac_f32_e32 v77, 0xbeb58ec6, v81
	v_fma_f32 v84, 0x3f62ad3f, v81, -v60
	v_fma_f32 v75, 0xbeb58ec6, v79, -v75
	v_add_f32_e32 v68, v82, v68
	v_mul_f32_e32 v82, 0x3eedf032, v83
	v_fmac_f32_e32 v60, 0x3f62ad3f, v81
	v_add_f32_e32 v69, v84, v69
	v_mul_f32_e32 v84, 0xbf52af12, v83
	v_add_f32_e32 v64, v77, v64
	v_add_f32_e32 v65, v75, v65
	v_mul_f32_e32 v75, 0xbf52af12, v80
	v_fmamk_f32 v77, v79, 0x3f62ad3f, v82
	v_add_f32_e32 v60, v60, v61
	v_fmamk_f32 v61, v79, 0x3f116cb1, v84
	v_add_f32_e32 v62, v85, v62
	v_fma_f32 v82, 0x3f62ad3f, v79, -v82
	v_fma_f32 v85, 0x3f116cb1, v81, -v75
	v_add_f32_e32 v72, v77, v72
	v_mul_f32_e32 v77, 0xbf29c268, v80
	v_fmac_f32_e32 v75, 0x3f116cb1, v81
	v_add_f32_e32 v61, v61, v67
	v_mul_f32_e32 v67, 0xbf29c268, v83
	v_add_f32_e32 v70, v82, v70
	v_fma_f32 v80, 0x3f116cb1, v79, -v84
	v_fma_f32 v82, 0xbf3f9e67, v81, -v77
	v_add_f32_e32 v71, v75, v71
	v_sub_f32_e32 v75, v17, v11
	v_fmamk_f32 v83, v79, 0xbf3f9e67, v67
	v_add_f32_e32 v73, v80, v73
	v_add_f32_e32 v76, v82, v76
	;; [unrolled: 1-line block ×3, first 2 shown]
	v_mul_f32_e32 v82, 0xbf6f5d39, v75
	v_add_f32_e32 v78, v83, v78
	v_sub_f32_e32 v83, v16, v10
	v_fmac_f32_e32 v77, 0xbf3f9e67, v81
	v_fma_f32 v67, 0xbf3f9e67, v79, -v67
	v_fma_f32 v79, 0xbeb58ec6, v80, -v82
	v_add_f32_e32 v81, v11, v17
	v_mul_f32_e32 v84, 0xbf6f5d39, v83
	v_add_f32_e32 v74, v85, v74
	v_add_f32_e32 v46, v67, v46
	;; [unrolled: 1-line block ×3, first 2 shown]
	v_mul_f32_e32 v67, 0x3f29c268, v75
	v_fma_f32 v79, 0xbeb58ec6, v81, -v84
	v_add_f32_e32 v47, v77, v47
	v_fmamk_f32 v77, v81, 0xbeb58ec6, v84
	v_fmac_f32_e32 v82, 0xbeb58ec6, v80
	v_mul_f32_e32 v84, 0x3f29c268, v83
	v_fma_f32 v85, 0xbf3f9e67, v80, -v67
	v_add_f32_e32 v55, v79, v55
	v_mul_f32_e32 v79, 0x3eedf032, v75
	v_fmac_f32_e32 v67, 0xbf3f9e67, v80
	v_add_f32_e32 v54, v77, v54
	v_add_f32_e32 v52, v82, v52
	v_fmamk_f32 v77, v81, 0xbf3f9e67, v84
	v_fma_f32 v82, 0xbf3f9e67, v81, -v84
	v_fma_f32 v84, 0x3f62ad3f, v80, -v79
	v_add_f32_e32 v45, v67, v45
	v_mul_f32_e32 v67, 0xbf7e222b, v75
	v_add_f32_e32 v63, v77, v63
	v_mul_f32_e32 v77, 0x3eedf032, v83
	v_add_f32_e32 v66, v84, v66
	v_add_f32_e32 v53, v82, v53
	v_fma_f32 v84, 0x3df6dbef, v80, -v67
	v_fmac_f32_e32 v67, 0x3df6dbef, v80
	v_fmamk_f32 v82, v81, 0x3f62ad3f, v77
	v_fma_f32 v77, 0x3f62ad3f, v81, -v77
	v_fmac_f32_e32 v79, 0x3f62ad3f, v80
	v_add_f32_e32 v69, v84, v69
	v_mul_f32_e32 v84, 0x3e750f2a, v83
	v_add_f32_e32 v68, v82, v68
	v_mul_f32_e32 v82, 0xbf7e222b, v83
	;; [unrolled: 2-line block ×3, first 2 shown]
	v_add_f32_e32 v60, v67, v60
	v_fmamk_f32 v67, v81, 0xbf788fa5, v84
	v_add_f32_e32 v62, v85, v62
	v_add_f32_e32 v64, v79, v64
	v_fmamk_f32 v79, v81, 0x3df6dbef, v82
	v_fma_f32 v82, 0x3df6dbef, v81, -v82
	v_fma_f32 v85, 0xbf788fa5, v80, -v77
	v_mul_f32_e32 v75, 0x3f52af12, v75
	v_fmac_f32_e32 v77, 0xbf788fa5, v80
	v_add_f32_e32 v61, v67, v61
	v_mul_f32_e32 v67, 0x3f52af12, v83
	v_add_f32_e32 v72, v79, v72
	v_add_f32_e32 v70, v82, v70
	v_fma_f32 v79, 0xbf788fa5, v81, -v84
	v_fma_f32 v82, 0x3f116cb1, v80, -v75
	v_add_f32_e32 v71, v77, v71
	v_sub_f32_e32 v77, v19, v9
	v_fmamk_f32 v83, v81, 0x3f116cb1, v67
	v_add_f32_e32 v73, v79, v73
	v_add_f32_e32 v76, v82, v76
	;; [unrolled: 1-line block ×3, first 2 shown]
	v_mul_f32_e32 v82, 0xbf29c268, v77
	v_add_f32_e32 v78, v83, v78
	v_sub_f32_e32 v83, v18, v8
	v_fmac_f32_e32 v75, 0x3f116cb1, v80
	v_fma_f32 v67, 0x3f116cb1, v81, -v67
	v_fma_f32 v80, 0xbf3f9e67, v79, -v82
	v_add_f32_e32 v81, v9, v19
	v_mul_f32_e32 v84, 0xbf29c268, v83
	v_add_f32_e32 v74, v85, v74
	v_add_f32_e32 v46, v67, v46
	;; [unrolled: 1-line block ×3, first 2 shown]
	v_mul_f32_e32 v67, 0x3f7e222b, v77
	v_fma_f32 v80, 0xbf3f9e67, v81, -v84
	v_add_f32_e32 v47, v75, v47
	v_fmamk_f32 v75, v81, 0xbf3f9e67, v84
	v_fmac_f32_e32 v82, 0xbf3f9e67, v79
	v_mul_f32_e32 v84, 0x3f7e222b, v83
	v_fma_f32 v85, 0x3df6dbef, v79, -v67
	v_add_f32_e32 v55, v80, v55
	v_mul_f32_e32 v80, 0xbf52af12, v77
	v_fmac_f32_e32 v67, 0x3df6dbef, v79
	v_add_f32_e32 v54, v75, v54
	v_add_f32_e32 v52, v82, v52
	v_fmamk_f32 v75, v81, 0x3df6dbef, v84
	v_fma_f32 v82, 0x3df6dbef, v81, -v84
	v_fma_f32 v84, 0x3f116cb1, v79, -v80
	v_add_f32_e32 v45, v67, v45
	v_mul_f32_e32 v67, 0x3e750f2a, v77
	v_add_f32_e32 v63, v75, v63
	v_mul_f32_e32 v75, 0xbf52af12, v83
	v_add_f32_e32 v66, v84, v66
	v_add_f32_e32 v53, v82, v53
	v_fma_f32 v84, 0xbf788fa5, v79, -v67
	v_fmac_f32_e32 v67, 0xbf788fa5, v79
	v_fmamk_f32 v82, v81, 0x3f116cb1, v75
	v_fma_f32 v75, 0x3f116cb1, v81, -v75
	v_fmac_f32_e32 v80, 0x3f116cb1, v79
	v_add_f32_e32 v69, v84, v69
	v_mul_f32_e32 v84, 0x3eedf032, v83
	v_add_f32_e32 v68, v82, v68
	v_mul_f32_e32 v82, 0x3e750f2a, v83
	;; [unrolled: 2-line block ×3, first 2 shown]
	v_add_f32_e32 v60, v67, v60
	v_fmamk_f32 v67, v81, 0x3f62ad3f, v84
	v_add_f32_e32 v62, v85, v62
	v_add_f32_e32 v64, v80, v64
	v_fmamk_f32 v80, v81, 0xbf788fa5, v82
	v_fma_f32 v82, 0xbf788fa5, v81, -v82
	v_fma_f32 v85, 0x3f62ad3f, v79, -v75
	v_fmac_f32_e32 v75, 0x3f62ad3f, v79
	v_add_f32_e32 v61, v67, v61
	v_mul_f32_e32 v67, 0xbf6f5d39, v83
	v_add_f32_e32 v80, v80, v72
	v_add_f32_e32 v70, v82, v70
	;; [unrolled: 1-line block ×3, first 2 shown]
	v_mul_f32_e32 v72, 0xbf6f5d39, v77
	v_fma_f32 v74, 0x3f62ad3f, v81, -v84
	v_add_f32_e32 v71, v75, v71
	v_sub_f32_e32 v83, v13, v15
	v_fmamk_f32 v75, v81, 0xbeb58ec6, v67
	v_sub_f32_e32 v88, v12, v14
	v_fma_f32 v77, 0xbeb58ec6, v79, -v72
	v_add_f32_e32 v84, v74, v73
	v_add_f32_e32 v86, v14, v12
	v_mul_f32_e32 v74, 0xbe750f2a, v83
	v_add_f32_e32 v87, v75, v78
	v_fmac_f32_e32 v72, 0xbeb58ec6, v79
	v_fma_f32 v67, 0xbeb58ec6, v81, -v67
	v_add_f32_e32 v89, v15, v13
	v_mul_f32_e32 v75, 0xbe750f2a, v88
	v_fma_f32 v73, 0xbf788fa5, v86, -v74
	v_add_f32_e32 v90, v72, v47
	v_add_f32_e32 v67, v67, v46
	v_fmac_f32_e32 v74, 0xbf788fa5, v86
	v_fmamk_f32 v46, v89, 0xbf788fa5, v75
	v_fma_f32 v47, 0xbf788fa5, v89, -v75
	v_mul_f32_e32 v75, 0x3eedf032, v88
	v_add_f32_e32 v72, v73, v44
	v_mul_f32_e32 v44, 0x3eedf032, v83
	v_add_f32_e32 v159, v74, v52
	v_add_f32_e32 v160, v47, v55
	v_mul_f32_e32 v52, 0xbf29c268, v83
	v_fma_f32 v47, 0x3f62ad3f, v89, -v75
	v_add_f32_e32 v85, v77, v76
	v_fma_f32 v76, 0x3f62ad3f, v86, -v44
	v_add_f32_e32 v73, v46, v54
	v_fmamk_f32 v46, v89, 0x3f62ad3f, v75
	v_fmac_f32_e32 v44, 0x3f62ad3f, v86
	v_mul_f32_e32 v54, 0xbf29c268, v88
	v_fma_f32 v55, 0xbf3f9e67, v86, -v52
	v_add_f32_e32 v47, v47, v53
	v_mul_f32_e32 v53, 0x3f52af12, v83
	v_add_f32_e32 v74, v76, v62
	v_add_f32_e32 v75, v46, v63
	;; [unrolled: 1-line block ×3, first 2 shown]
	v_fmamk_f32 v44, v89, 0xbf3f9e67, v54
	v_add_f32_e32 v76, v55, v66
	v_fmac_f32_e32 v52, 0xbf3f9e67, v86
	v_fma_f32 v45, 0xbf3f9e67, v89, -v54
	v_fma_f32 v54, 0x3f116cb1, v86, -v53
	v_mul_f32_e32 v55, 0x3f52af12, v88
	v_mul_f32_e32 v62, 0xbf6f5d39, v88
	s_load_dwordx2 s[4:5], s[4:5], 0x8
	v_add_f32_e32 v77, v44, v68
	v_add_f32_e32 v44, v52, v64
	;; [unrolled: 1-line block ×3, first 2 shown]
	v_mul_f32_e32 v52, 0xbf6f5d39, v83
	v_fmamk_f32 v54, v89, 0x3f116cb1, v55
	v_fmac_f32_e32 v53, 0x3f116cb1, v86
	v_fmamk_f32 v64, v89, 0xbeb58ec6, v62
	v_fma_f32 v55, 0x3f116cb1, v89, -v55
	v_fma_f32 v63, 0xbeb58ec6, v86, -v52
	v_add_f32_e32 v79, v54, v80
	v_add_f32_e32 v54, v53, v60
	;; [unrolled: 1-line block ×3, first 2 shown]
	v_fma_f32 v53, 0xbeb58ec6, v89, -v62
	v_mul_f32_e32 v60, 0x3f7e222b, v83
	v_mul_f32_e32 v61, 0x3f7e222b, v88
	v_mul_lo_u16 v62, v164, 13
	v_add_f32_e32 v80, v63, v82
	v_fmac_f32_e32 v52, 0xbeb58ec6, v86
	v_fma_f32 v63, 0x3df6dbef, v86, -v60
	v_fmamk_f32 v64, v89, 0x3df6dbef, v61
	v_fmac_f32_e32 v60, 0x3df6dbef, v86
	v_and_b32_e32 v62, 0xffff, v62
	v_fma_f32 v61, 0x3df6dbef, v89, -v61
	v_add_f32_e32 v45, v45, v65
	v_add_f32_e32 v55, v55, v70
	;; [unrolled: 1-line block ×7, first 2 shown]
	v_lshl_add_u32 v172, v62, 3, v165
	v_add_f32_e32 v83, v61, v67
	v_mul_u32_u24_e32 v167, 13, v92
	s_waitcnt lgkmcnt(0)
	s_barrier
	buffer_gl0_inv
	ds_write2_b64 v172, v[50:51], v[26:27] offset1:1
	ds_write2_b64 v172, v[30:31], v[36:37] offset0:2 offset1:3
	ds_write2_b64 v172, v[38:39], v[42:43] offset0:4 offset1:5
	;; [unrolled: 1-line block ×5, first 2 shown]
	ds_write_b64 v172, v[24:25] offset:96
	s_and_saveexec_b32 s0, vcc_lo
	s_cbranch_execz .LBB0_7
; %bb.6:
	v_add_f32_e32 v1, v3, v1
	v_add_f32_e32 v0, v2, v0
	v_lshl_add_u32 v2, v167, 3, v165
	v_add_f32_e32 v1, v21, v1
	v_add_f32_e32 v0, v20, v0
	ds_write2_b64 v2, v[74:75], v[76:77] offset0:2 offset1:3
	v_add_f32_e32 v1, v23, v1
	v_add_f32_e32 v0, v22, v0
	v_add_f32_e32 v1, v17, v1
	v_add_f32_e32 v0, v16, v0
	v_add_f32_e32 v1, v19, v1
	v_add_f32_e32 v0, v18, v0
	v_add_f32_e32 v1, v13, v1
	v_add_f32_e32 v0, v12, v0
	v_add_f32_e32 v1, v15, v1
	v_add_f32_e32 v0, v14, v0
	v_add_f32_e32 v1, v9, v1
	v_add_f32_e32 v0, v8, v0
	v_add_f32_e32 v1, v11, v1
	v_add_f32_e32 v0, v10, v0
	v_add_f32_e32 v1, v5, v1
	v_add_f32_e32 v0, v4, v0
	v_add_f32_e32 v1, v7, v1
	v_add_f32_e32 v0, v6, v0
	v_add_f32_e32 v1, v49, v1
	v_add_f32_e32 v0, v48, v0
	ds_write2_b64 v2, v[78:79], v[80:81] offset0:4 offset1:5
	ds_write2_b64 v2, v[84:85], v[82:83] offset0:6 offset1:7
	;; [unrolled: 1-line block ×4, first 2 shown]
	ds_write2_b64 v2, v[0:1], v[72:73] offset1:1
	ds_write_b64 v2, v[159:160] offset:96
.LBB0_7:
	s_or_b32 exec_lo, exec_lo, s0
	v_add_nc_u32_e32 v2, 0x800, v163
	v_add_nc_u32_e32 v0, 0x400, v163
	;; [unrolled: 1-line block ×6, first 2 shown]
	s_waitcnt lgkmcnt(0)
	s_barrier
	buffer_gl0_inv
	ds_read2_b64 v[36:39], v163 offset1:91
	ds_read2_b64 v[40:43], v0 offset0:67 offset1:158
	ds_read2_b64 v[68:71], v2 offset0:134 offset1:225
	;; [unrolled: 1-line block ×6, first 2 shown]
	v_cmp_gt_u16_e64 s0, 13, v164
	s_and_saveexec_b32 s1, s0
	s_cbranch_execz .LBB0_9
; %bb.8:
	v_add_nc_u32_e32 v9, 0x1e00, v163
	ds_read2_b64 v[1:4], v1 offset0:60 offset1:255
	ds_read2_b64 v[5:8], v0 offset0:54 offset1:249
	;; [unrolled: 1-line block ×3, first 2 shown]
	ds_read_b64 v[82:83], v163 offset:10816
	s_waitcnt lgkmcnt(3)
	v_mov_b32_e32 v78, v3
	v_mov_b32_e32 v79, v4
	;; [unrolled: 1-line block ×4, first 2 shown]
	s_waitcnt lgkmcnt(2)
	v_mov_b32_e32 v74, v7
	v_mov_b32_e32 v75, v8
	v_mov_b32_e32 v72, v5
	s_waitcnt lgkmcnt(1)
	v_mov_b32_e32 v84, v11
	v_mov_b32_e32 v85, v12
	;; [unrolled: 1-line block ×5, first 2 shown]
.LBB0_9:
	s_or_b32 exec_lo, exec_lo, s1
	v_and_b32_e32 v0, 0xff, v164
	v_add_co_u32 v93, null, 0xb6, v164
	v_mov_b32_e32 v2, 6
	v_mov_b32_e32 v91, 0x5b
	v_mul_lo_u16 v0, 0x4f, v0
	v_lshrrev_b16 v86, 10, v0
	v_and_b32_e32 v0, 0xff, v92
	v_mul_lo_u16 v1, v86, 13
	v_mul_lo_u16 v0, 0x4f, v0
	v_mul_u32_u24_sdwa v86, v86, v91 dst_sel:DWORD dst_unused:UNUSED_PAD src0_sel:WORD_0 src1_sel:DWORD
	v_sub_nc_u16 v87, v164, v1
	v_lshrrev_b16 v88, 10, v0
	v_mov_b32_e32 v0, 0x4ec5
	v_mul_u32_u24_sdwa v1, v87, v2 dst_sel:DWORD dst_unused:UNUSED_PAD src0_sel:BYTE_0 src1_sel:DWORD
	v_mul_lo_u16 v3, v88, 13
	v_mul_u32_u24_sdwa v0, v93, v0 dst_sel:DWORD dst_unused:UNUSED_PAD src0_sel:WORD_0 src1_sel:DWORD
	v_mul_u32_u24_sdwa v88, v88, v91 dst_sel:DWORD dst_unused:UNUSED_PAD src0_sel:WORD_0 src1_sel:DWORD
	v_add_nc_u32_sdwa v86, v86, v87 dst_sel:DWORD dst_unused:UNUSED_PAD src0_sel:DWORD src1_sel:BYTE_0
	v_lshlrev_b32_e32 v1, 3, v1
	v_sub_nc_u16 v89, v92, v3
	v_lshrrev_b32_e32 v0, 18, v0
	v_lshl_add_u32 v170, v86, 3, v165
	s_clause 0x1
	global_load_dwordx4 v[32:35], v1, s[4:5]
	global_load_dwordx4 v[28:31], v1, s[4:5] offset:16
	v_mul_u32_u24_sdwa v2, v89, v2 dst_sel:DWORD dst_unused:UNUSED_PAD src0_sel:BYTE_0 src1_sel:DWORD
	v_mul_lo_u16 v0, v0, 13
	global_load_dwordx4 v[24:27], v1, s[4:5] offset:32
	v_add_nc_u32_sdwa v87, v88, v89 dst_sel:DWORD dst_unused:UNUSED_PAD src0_sel:DWORD src1_sel:BYTE_0
	v_lshlrev_b32_e32 v2, 3, v2
	v_sub_nc_u16 v90, v93, v0
	v_mov_b32_e32 v0, 3
	v_lshl_add_u32 v169, v87, 3, v165
	global_load_dwordx4 v[20:23], v2, s[4:5]
	v_mul_lo_u16 v1, v90, 6
	global_load_dwordx4 v[16:19], v2, s[4:5] offset:16
	v_and_b32_e32 v168, 0xffff, v90
	v_lshlrev_b32_sdwa v8, v0, v1 dst_sel:DWORD dst_unused:UNUSED_PAD src0_sel:DWORD src1_sel:WORD_0
	s_clause 0x3
	global_load_dwordx4 v[12:15], v2, s[4:5] offset:32
	global_load_dwordx4 v[4:7], v8, s[4:5]
	global_load_dwordx4 v[0:3], v8, s[4:5] offset:16
	global_load_dwordx4 v[8:11], v8, s[4:5] offset:32
	s_waitcnt vmcnt(0) lgkmcnt(0)
	s_barrier
	buffer_gl0_inv
	v_mul_f32_e32 v86, v41, v33
	v_mul_f32_e32 v87, v40, v33
	;; [unrolled: 1-line block ×36, first 2 shown]
	v_fma_f32 v40, v40, v32, -v86
	v_fmac_f32_e32 v87, v41, v32
	v_fma_f32 v41, v68, v34, -v88
	v_fmac_f32_e32 v89, v69, v34
	;; [unrolled: 2-line block ×18, first 2 shown]
	v_add_f32_e32 v66, v40, v48
	v_add_f32_e32 v67, v87, v99
	v_sub_f32_e32 v40, v40, v48
	v_sub_f32_e32 v48, v87, v99
	v_add_f32_e32 v68, v41, v56
	v_add_f32_e32 v69, v89, v97
	v_sub_f32_e32 v41, v41, v56
	v_sub_f32_e32 v56, v89, v97
	;; [unrolled: 4-line block ×6, first 2 shown]
	v_add_f32_e32 v80, v51, v65
	v_add_f32_e32 v81, v113, v162
	;; [unrolled: 1-line block ×4, first 2 shown]
	v_sub_f32_e32 v51, v51, v65
	v_sub_f32_e32 v65, v113, v162
	;; [unrolled: 1-line block ×4, first 2 shown]
	v_add_f32_e32 v84, v61, v62
	v_add_f32_e32 v85, v117, v119
	v_sub_f32_e32 v61, v62, v61
	v_sub_f32_e32 v62, v119, v117
	v_add_f32_e32 v86, v68, v66
	v_add_f32_e32 v87, v69, v67
	v_sub_f32_e32 v88, v68, v66
	v_sub_f32_e32 v89, v69, v67
	;; [unrolled: 1-line block ×6, first 2 shown]
	v_add_f32_e32 v90, v60, v41
	v_add_f32_e32 v91, v64, v56
	v_sub_f32_e32 v94, v60, v41
	v_sub_f32_e32 v95, v64, v56
	v_sub_f32_e32 v96, v41, v40
	v_sub_f32_e32 v56, v56, v48
	v_add_f32_e32 v41, v76, v74
	v_add_f32_e32 v97, v77, v75
	v_sub_f32_e32 v98, v76, v74
	v_sub_f32_e32 v99, v77, v75
	;; [unrolled: 1-line block ×6, first 2 shown]
	v_add_f32_e32 v100, v49, v43
	v_add_f32_e32 v101, v57, v58
	v_sub_f32_e32 v102, v49, v43
	v_sub_f32_e32 v103, v57, v58
	;; [unrolled: 1-line block ×4, first 2 shown]
	v_add_f32_e32 v104, v82, v80
	v_add_f32_e32 v105, v83, v81
	v_sub_f32_e32 v60, v40, v60
	v_sub_f32_e32 v64, v48, v64
	;; [unrolled: 1-line block ×10, first 2 shown]
	v_add_f32_e32 v108, v61, v59
	v_add_f32_e32 v109, v62, v63
	v_sub_f32_e32 v110, v61, v59
	v_sub_f32_e32 v111, v62, v63
	;; [unrolled: 1-line block ×4, first 2 shown]
	v_add_f32_e32 v70, v70, v86
	v_add_f32_e32 v71, v71, v87
	;; [unrolled: 1-line block ×4, first 2 shown]
	v_mul_f32_e32 v66, 0x3f4a47b2, v66
	v_mul_f32_e32 v67, 0x3f4a47b2, v67
	;; [unrolled: 1-line block ×8, first 2 shown]
	v_add_f32_e32 v78, v78, v41
	v_add_f32_e32 v79, v79, v97
	;; [unrolled: 1-line block ×4, first 2 shown]
	v_mul_f32_e32 v74, 0x3f4a47b2, v74
	v_mul_f32_e32 v75, 0x3f4a47b2, v75
	v_mul_f32_e32 v97, 0x3d64c772, v76
	v_mul_f32_e32 v100, 0x3d64c772, v77
	v_mul_f32_e32 v101, 0xbf08b237, v102
	v_mul_f32_e32 v102, 0xbf08b237, v103
	v_mul_f32_e32 v103, 0x3f5ff5aa, v43
	v_mul_f32_e32 v113, 0x3f5ff5aa, v58
	v_add_f32_e32 v84, v84, v104
	v_add_f32_e32 v85, v85, v105
	v_sub_f32_e32 v61, v51, v61
	v_sub_f32_e32 v62, v65, v62
	v_add_f32_e32 v51, v108, v51
	v_add_f32_e32 v65, v109, v65
	v_mul_f32_e32 v80, 0x3f4a47b2, v80
	v_mul_f32_e32 v81, 0x3f4a47b2, v81
	;; [unrolled: 1-line block ×8, first 2 shown]
	v_add_f32_e32 v40, v36, v70
	v_add_f32_e32 v41, v37, v71
	v_fmamk_f32 v68, v68, 0x3d64c772, v66
	v_fmamk_f32 v69, v69, 0x3d64c772, v67
	v_fma_f32 v87, 0x3f3bfb3b, v88, -v87
	v_fma_f32 v90, 0x3f3bfb3b, v89, -v90
	v_fma_f32 v66, 0xbf3bfb3b, v88, -v66
	v_fma_f32 v67, 0xbf3bfb3b, v89, -v67
	v_fmamk_f32 v88, v60, 0x3eae86e6, v91
	v_fmamk_f32 v89, v64, 0x3eae86e6, v94
	v_fma_f32 v91, 0x3f5ff5aa, v96, -v91
	v_fma_f32 v56, 0x3f5ff5aa, v56, -v94
	v_fma_f32 v60, 0xbeae86e6, v60, -v95
	v_fma_f32 v64, 0xbeae86e6, v64, -v112
	v_add_f32_e32 v38, v38, v78
	v_add_f32_e32 v39, v39, v79
	v_fmamk_f32 v76, v76, 0x3d64c772, v74
	v_fmamk_f32 v77, v77, 0x3d64c772, v75
	v_fma_f32 v94, 0x3f3bfb3b, v98, -v97
	v_fma_f32 v95, 0x3f3bfb3b, v99, -v100
	v_fma_f32 v74, 0xbf3bfb3b, v98, -v74
	v_fma_f32 v75, 0xbf3bfb3b, v99, -v75
	v_fmamk_f32 v96, v49, 0x3eae86e6, v101
	v_fmamk_f32 v97, v57, 0x3eae86e6, v102
	v_fma_f32 v98, 0x3f5ff5aa, v43, -v101
	v_fma_f32 v99, 0x3f5ff5aa, v58, -v102
	v_fma_f32 v100, 0xbeae86e6, v49, -v103
	v_fma_f32 v101, 0xbeae86e6, v57, -v113
	;; [unrolled: 14-line block ×3, first 2 shown]
	v_fmamk_f32 v59, v70, 0xbf955555, v40
	v_fmamk_f32 v61, v71, 0xbf955555, v41
	v_fmac_f32_e32 v89, 0x3ee1c552, v48
	v_fmac_f32_e32 v56, 0x3ee1c552, v48
	;; [unrolled: 1-line block ×3, first 2 shown]
	v_fmamk_f32 v48, v78, 0xbf955555, v38
	v_fmamk_f32 v62, v79, 0xbf955555, v39
	v_fmac_f32_e32 v96, 0x3ee1c552, v42
	v_fmac_f32_e32 v97, 0x3ee1c552, v50
	;; [unrolled: 1-line block ×6, first 2 shown]
	v_fmamk_f32 v42, v84, 0xbf955555, v36
	v_fmamk_f32 v50, v85, 0xbf955555, v37
	v_fmac_f32_e32 v88, 0x3ee1c552, v86
	v_fmac_f32_e32 v91, 0x3ee1c552, v86
	v_fmac_f32_e32 v60, 0x3ee1c552, v86
	v_fmac_f32_e32 v83, 0x3ee1c552, v51
	v_fmac_f32_e32 v82, 0x3ee1c552, v65
	v_fmac_f32_e32 v80, 0x3ee1c552, v51
	v_fmac_f32_e32 v81, 0x3ee1c552, v65
	v_fmac_f32_e32 v102, 0x3ee1c552, v51
	v_fmac_f32_e32 v103, 0x3ee1c552, v65
	v_add_f32_e32 v63, v68, v59
	v_add_f32_e32 v65, v69, v61
	;; [unrolled: 1-line block ×19, first 2 shown]
	v_sub_f32_e32 v43, v65, v88
	v_add_f32_e32 v48, v64, v59
	v_sub_f32_e32 v49, v61, v60
	v_add_f32_e32 v51, v91, v69
	v_sub_f32_e32 v57, v69, v91
	v_sub_f32_e32 v58, v59, v64
	v_add_f32_e32 v59, v60, v61
	v_sub_f32_e32 v60, v63, v89
	v_add_f32_e32 v61, v88, v65
	v_add_f32_e32 v84, v82, v78
	v_sub_f32_e32 v85, v79, v83
	v_add_f32_e32 v86, v103, v95
	v_sub_f32_e32 v87, v104, v102
	v_sub_f32_e32 v88, v90, v81
	v_add_f32_e32 v89, v80, v94
	v_add_f32_e32 v90, v81, v90
	v_sub_f32_e32 v91, v94, v80
	v_sub_f32_e32 v80, v95, v103
	v_add_f32_e32 v81, v102, v104
	v_sub_f32_e32 v82, v78, v82
	v_add_f32_e32 v83, v83, v79
	;; [unrolled: 2-line block ×3, first 2 shown]
	v_add_f32_e32 v62, v97, v76
	v_sub_f32_e32 v63, v77, v96
	v_add_f32_e32 v64, v101, v74
	v_sub_f32_e32 v65, v75, v100
	v_sub_f32_e32 v66, v70, v99
	v_add_f32_e32 v67, v98, v71
	v_add_f32_e32 v68, v99, v70
	v_sub_f32_e32 v69, v71, v98
	v_sub_f32_e32 v70, v74, v101
	v_add_f32_e32 v71, v100, v75
	v_sub_f32_e32 v72, v76, v97
	v_add_f32_e32 v73, v96, v77
	ds_write2_b64 v170, v[40:41], v[42:43] offset1:13
	ds_write2_b64 v170, v[48:49], v[50:51] offset0:26 offset1:39
	ds_write2_b64 v170, v[56:57], v[58:59] offset0:52 offset1:65
	ds_write_b64 v170, v[60:61] offset:624
	ds_write2_b64 v169, v[38:39], v[62:63] offset1:13
	ds_write2_b64 v169, v[64:65], v[66:67] offset0:26 offset1:39
	ds_write2_b64 v169, v[68:69], v[70:71] offset0:52 offset1:65
	ds_write_b64 v169, v[72:73] offset:624
	s_and_saveexec_b32 s1, s0
	s_cbranch_execz .LBB0_11
; %bb.10:
	v_lshl_add_u32 v38, v168, 3, v165
	v_add_nc_u32_e32 v39, 0x2400, v38
	v_add_nc_u32_e32 v40, 0x2800, v38
	ds_write2_b64 v39, v[36:37], v[84:85] offset0:122 offset1:135
	ds_write2_b64 v40, v[86:87], v[88:89] offset0:20 offset1:33
	;; [unrolled: 1-line block ×3, first 2 shown]
	ds_write_b64 v38, v[82:83] offset:10816
.LBB0_11:
	s_or_b32 exec_lo, exec_lo, s1
	v_mov_b32_e32 v40, 0x6817
	v_lshlrev_b32_e32 v78, 5, v164
	s_waitcnt lgkmcnt(0)
	s_barrier
	buffer_gl0_inv
	v_mul_u32_u24_sdwa v40, v93, v40 dst_sel:DWORD dst_unused:UNUSED_PAD src0_sel:WORD_0 src1_sel:DWORD
	s_clause 0x1
	global_load_dwordx4 v[48:51], v78, s[4:5] offset:624
	global_load_dwordx4 v[36:39], v78, s[4:5] offset:640
	v_add_nc_u32_e32 v104, 0x400, v163
	v_add_nc_u32_e32 v109, 0x1000, v163
	;; [unrolled: 1-line block ×3, first 2 shown]
	v_lshrrev_b32_e32 v40, 16, v40
	v_add_nc_u32_e32 v108, 0x2000, v163
	v_add_nc_u32_e32 v94, 0x800, v163
	v_lshlrev_b32_e32 v92, 4, v92
	v_add_nc_u32_e32 v110, 0x1800, v163
	v_sub_nc_u16 v41, v93, v40
	v_lshlrev_b32_e32 v99, 4, v164
	v_lshrrev_b16 v41, 1, v41
	v_add_nc_u32_e32 v106, 0x1110, v99
	v_add_nc_u32_e32 v107, 0x16c0, v99
	v_add_nc_u16 v40, v41, v40
	v_lshrrev_b16 v40, 6, v40
	v_mul_lo_u16 v40, 0x5b, v40
	v_sub_nc_u16 v79, v93, v40
	v_lshlrev_b32_e32 v93, 4, v93
	v_lshlrev_b16 v40, 5, v79
	v_and_b32_e32 v79, 0xffff, v79
	v_and_b32_e32 v40, 0xffff, v40
	v_lshl_add_u32 v171, v79, 3, v165
	v_add_co_u32 v40, s1, s4, v40
	v_add_co_ci_u32_e64 v41, null, s5, 0, s1
	v_add_co_u32 v78, s1, s4, v78
	v_add_co_ci_u32_e64 v101, null, s5, 0, s1
	s_clause 0x1
	global_load_dwordx4 v[56:59], v[40:41], off offset:624
	global_load_dwordx4 v[40:43], v[40:41], off offset:640
	ds_read2_b64 v[60:63], v163 offset1:91
	ds_read_b64 v[64:65], v163 offset:10192
	ds_read2_b64 v[66:69], v104 offset0:54 offset1:145
	ds_read2_b64 v[70:73], v109 offset0:34 offset1:125
	;; [unrolled: 1-line block ×6, first 2 shown]
	v_add_co_u32 v92, s1, s4, v92
	v_add_co_ci_u32_e64 v102, null, s5, 0, s1
	v_add_co_u32 v103, s1, s4, v93
	v_add_co_ci_u32_e64 v105, null, s5, 0, s1
	v_sub_co_u32 v78, s1, v78, v99
	v_subrev_co_ci_u32_e64 v99, s1, 0, v101, s1
	v_add_co_u32 v92, s1, 0x800, v92
	v_add_co_ci_u32_e64 v93, s1, 0, v102, s1
	v_add_co_u32 v101, s1, 0x800, v103
	v_add_co_ci_u32_e64 v102, s1, 0, v105, s1
	v_add_co_u32 v103, s1, s4, v106
	s_waitcnt vmcnt(0) lgkmcnt(0)
	s_barrier
	buffer_gl0_inv
	v_add_co_ci_u32_e64 v119, null, s5, 0, s1
	v_add_co_u32 v78, s1, 0x800, v78
	v_add_co_ci_u32_e64 v79, s1, 0, v99, s1
	v_add_nc_u32_e32 v99, 0x1800, v171
	v_add_nc_u32_e32 v157, 0x2000, v171
	v_mul_f32_e32 v105, v69, v49
	v_mul_f32_e32 v106, v68, v49
	;; [unrolled: 1-line block ×10, first 2 shown]
	v_fma_f32 v68, v68, v48, -v105
	v_fmac_f32_e32 v106, v69, v48
	v_fma_f32 v69, v70, v50, -v158
	v_fmac_f32_e32 v161, v71, v50
	;; [unrolled: 2-line block ×3, first 2 shown]
	v_mul_f32_e32 v175, v112, v49
	v_mul_f32_e32 v181, v98, v39
	v_fma_f32 v105, v95, v38, -v173
	v_fmac_f32_e32 v174, v96, v38
	v_mul_f32_e32 v176, v111, v49
	v_mul_f32_e32 v182, v97, v39
	v_fma_f32 v71, v72, v50, -v177
	v_fmac_f32_e32 v178, v73, v50
	v_add_f32_e32 v72, v60, v68
	v_add_f32_e32 v73, v69, v76
	;; [unrolled: 1-line block ×4, first 2 shown]
	v_mul_f32_e32 v179, v116, v37
	v_fma_f32 v70, v111, v48, -v175
	v_fma_f32 v111, v97, v38, -v181
	v_add_f32_e32 v97, v68, v105
	v_add_f32_e32 v181, v106, v174
	v_mul_f32_e32 v180, v115, v37
	v_fmac_f32_e32 v176, v112, v48
	v_fmac_f32_e32 v182, v98, v38
	v_sub_f32_e32 v112, v106, v174
	v_sub_f32_e32 v77, v68, v69
	v_sub_f32_e32 v98, v69, v68
	v_sub_f32_e32 v173, v68, v105
	v_sub_f32_e32 v175, v69, v76
	v_sub_f32_e32 v177, v106, v161
	v_sub_f32_e32 v106, v161, v106
	v_sub_f32_e32 v183, v166, v174
	v_add_f32_e32 v72, v72, v69
	v_fma_f32 v68, -0.5, v73, v60
	v_add_f32_e32 v73, v158, v161
	v_fma_f32 v69, -0.5, v162, v61
	v_fma_f32 v95, v115, v36, -v179
	v_sub_f32_e32 v115, v161, v166
	v_sub_f32_e32 v96, v105, v76
	v_fma_f32 v60, -0.5, v97, v60
	v_fma_f32 v61, -0.5, v181, v61
	v_fmac_f32_e32 v180, v116, v36
	v_sub_f32_e32 v116, v76, v105
	v_add_f32_e32 v184, v62, v70
	v_add_f32_e32 v193, v63, v176
	v_sub_f32_e32 v179, v174, v166
	v_add_f32_e32 v161, v106, v183
	v_add_f32_e32 v106, v72, v76
	v_fmamk_f32 v72, v112, 0x3f737871, v68
	v_add_f32_e32 v166, v73, v166
	v_fmamk_f32 v73, v173, 0xbf737871, v69
	;; [unrolled: 2-line block ×3, first 2 shown]
	v_fmac_f32_e32 v60, 0x3f737871, v115
	v_fmamk_f32 v77, v175, 0x3f737871, v61
	v_fmac_f32_e32 v61, 0xbf737871, v175
	v_add_f32_e32 v116, v98, v116
	v_add_f32_e32 v96, v184, v71
	;; [unrolled: 1-line block ×3, first 2 shown]
	v_fmac_f32_e32 v68, 0xbf737871, v112
	v_fmac_f32_e32 v69, 0x3f737871, v173
	v_add_f32_e32 v158, v177, v179
	v_fmac_f32_e32 v72, 0x3f167918, v115
	v_fmac_f32_e32 v73, 0xbf167918, v175
	;; [unrolled: 1-line block ×6, first 2 shown]
	v_sub_f32_e32 v187, v178, v180
	v_add_f32_e32 v194, v178, v180
	v_sub_f32_e32 v198, v182, v180
	v_sub_f32_e32 v200, v180, v182
	v_add_f32_e32 v179, v96, v95
	v_add_f32_e32 v180, v98, v180
	v_fmac_f32_e32 v68, 0xbf167918, v115
	v_fmac_f32_e32 v69, 0x3f167918, v175
	v_add_f32_e32 v185, v71, v95
	v_add_f32_e32 v105, v106, v105
	;; [unrolled: 1-line block ×3, first 2 shown]
	v_fmac_f32_e32 v72, 0x3e9e377a, v201
	v_fmac_f32_e32 v73, 0x3e9e377a, v158
	;; [unrolled: 1-line block ×6, first 2 shown]
	v_sub_f32_e32 v189, v111, v95
	v_add_f32_e32 v190, v70, v111
	v_sub_f32_e32 v192, v95, v111
	v_sub_f32_e32 v195, v70, v111
	v_add_f32_e32 v111, v179, v111
	v_add_f32_e32 v112, v180, v182
	v_fmac_f32_e32 v68, 0x3e9e377a, v201
	v_fmac_f32_e32 v69, 0x3e9e377a, v158
	v_sub_f32_e32 v186, v176, v182
	v_sub_f32_e32 v188, v70, v71
	v_sub_f32_e32 v191, v71, v70
	v_fma_f32 v70, -0.5, v185, v62
	ds_write2_b64 v163, v[105:106], v[72:73] offset1:91
	ds_write2_b64 v104, v[76:77], v[60:61] offset0:54 offset1:145
	ds_write2_b64 v94, v[68:69], v[111:112] offset0:108 offset1:199
	v_mul_f32_e32 v60, v114, v57
	v_mul_f32_e32 v61, v113, v57
	;; [unrolled: 1-line block ×8, first 2 shown]
	v_sub_f32_e32 v196, v71, v95
	v_fmamk_f32 v95, v186, 0x3f737871, v70
	v_fmac_f32_e32 v70, 0xbf737871, v186
	v_fma_f32 v60, v113, v56, -v60
	v_fmac_f32_e32 v61, v114, v56
	v_fma_f32 v68, v74, v58, -v68
	;; [unrolled: 2-line block ×3, first 2 shown]
	v_fmac_f32_e32 v73, v118, v40
	v_fmac_f32_e32 v77, v65, v42
	v_fma_f32 v74, v64, v42, -v76
	v_add_f32_e32 v199, v176, v182
	v_add_f32_e32 v162, v188, v189
	v_fmac_f32_e32 v95, 0x3f167918, v187
	v_fmac_f32_e32 v70, 0xbf167918, v187
	v_add_f32_e32 v64, v66, v60
	v_add_f32_e32 v65, v68, v72
	;; [unrolled: 1-line block ×6, first 2 shown]
	v_fma_f32 v62, -0.5, v190, v62
	v_fma_f32 v71, -0.5, v194, v63
	v_fmac_f32_e32 v63, -0.5, v199
	v_fmac_f32_e32 v95, 0x3e9e377a, v162
	v_fmac_f32_e32 v70, 0x3e9e377a, v162
	v_sub_f32_e32 v75, v61, v77
	v_sub_f32_e32 v105, v60, v68
	;; [unrolled: 1-line block ×6, first 2 shown]
	v_add_f32_e32 v64, v64, v68
	v_fma_f32 v60, -0.5, v65, v66
	v_add_f32_e32 v65, v114, v69
	v_fma_f32 v61, -0.5, v115, v67
	v_sub_f32_e32 v76, v69, v73
	v_sub_f32_e32 v117, v68, v72
	v_fma_f32 v66, -0.5, v111, v66
	v_fmac_f32_e32 v67, -0.5, v161
	v_sub_f32_e32 v197, v176, v178
	v_sub_f32_e32 v176, v178, v176
	v_fmamk_f32 v97, v187, 0xbf737871, v62
	v_fmamk_f32 v96, v195, 0xbf737871, v71
	;; [unrolled: 1-line block ×3, first 2 shown]
	v_fmac_f32_e32 v62, 0x3f737871, v187
	v_fmac_f32_e32 v71, 0x3f737871, v195
	;; [unrolled: 1-line block ×3, first 2 shown]
	v_sub_f32_e32 v106, v74, v72
	v_sub_f32_e32 v113, v72, v74
	;; [unrolled: 1-line block ×4, first 2 shown]
	v_add_f32_e32 v72, v64, v72
	v_fmamk_f32 v64, v75, 0x3f737871, v60
	v_add_f32_e32 v73, v65, v73
	v_fmamk_f32 v65, v116, 0xbf737871, v61
	v_fmamk_f32 v68, v76, 0xbf737871, v66
	v_fmac_f32_e32 v66, 0x3f737871, v76
	v_fmamk_f32 v69, v117, 0x3f737871, v67
	v_fmac_f32_e32 v67, 0xbf737871, v117
	v_fmac_f32_e32 v60, 0xbf737871, v75
	;; [unrolled: 1-line block ×3, first 2 shown]
	v_add_f32_e32 v177, v191, v192
	v_add_f32_e32 v178, v197, v198
	;; [unrolled: 1-line block ×3, first 2 shown]
	v_fmac_f32_e32 v97, 0x3f167918, v186
	v_fmac_f32_e32 v96, 0xbf167918, v196
	v_fmac_f32_e32 v98, 0xbf167918, v195
	v_fmac_f32_e32 v62, 0xbf167918, v186
	v_fmac_f32_e32 v71, 0x3f167918, v196
	v_fmac_f32_e32 v63, 0x3f167918, v195
	v_add_f32_e32 v105, v105, v106
	v_add_f32_e32 v111, v118, v158
	v_fmac_f32_e32 v64, 0x3f167918, v76
	v_fmac_f32_e32 v65, 0xbf167918, v117
	v_add_f32_e32 v106, v112, v113
	v_add_f32_e32 v112, v162, v166
	v_fmac_f32_e32 v68, 0x3f167918, v75
	v_fmac_f32_e32 v66, 0xbf167918, v75
	v_fmac_f32_e32 v69, 0xbf167918, v116
	v_fmac_f32_e32 v67, 0x3f167918, v116
	v_fmac_f32_e32 v60, 0xbf167918, v76
	v_fmac_f32_e32 v61, 0x3f167918, v117
	v_fmac_f32_e32 v97, 0x3e9e377a, v177
	v_fmac_f32_e32 v96, 0x3e9e377a, v178
	v_fmac_f32_e32 v98, 0x3e9e377a, v176
	v_fmac_f32_e32 v62, 0x3e9e377a, v177
	v_fmac_f32_e32 v71, 0x3e9e377a, v178
	v_fmac_f32_e32 v63, 0x3e9e377a, v176
	v_add_f32_e32 v72, v72, v74
	v_add_f32_e32 v73, v73, v77
	v_fmac_f32_e32 v64, 0x3e9e377a, v105
	v_fmac_f32_e32 v65, 0x3e9e377a, v111
	;; [unrolled: 1-line block ×8, first 2 shown]
	ds_write2_b64 v109, v[95:96], v[97:98] offset0:34 offset1:125
	ds_write2_b64 v100, v[62:63], v[70:71] offset0:88 offset1:179
	;; [unrolled: 1-line block ×4, first 2 shown]
	ds_write_b64 v171, v[60:61] offset:10192
	v_add_co_u32 v62, s1, s4, v107
	v_add_co_ci_u32_e64 v63, null, s5, 0, s1
	v_add_co_u32 v60, s1, 0x800, v103
	v_add_co_ci_u32_e64 v61, s1, 0, v119, s1
	v_add_co_u32 v62, s1, 0x800, v62
	v_add_co_ci_u32_e64 v63, s1, 0, v63, s1
	s_waitcnt lgkmcnt(0)
	s_barrier
	buffer_gl0_inv
	s_clause 0x4
	global_load_dwordx4 v[76:79], v[78:79], off offset:1488
	global_load_dwordx4 v[72:75], v[92:93], off offset:1488
	;; [unrolled: 1-line block ×5, first 2 shown]
	ds_read2_b64 v[94:97], v94 offset0:108 offset1:199
	ds_read2_b64 v[111:114], v110 offset0:142 offset1:233
	;; [unrolled: 1-line block ×5, first 2 shown]
	ds_read2_b64 v[181:184], v163 offset1:91
	ds_read_b64 v[92:93], v163 offset:10192
	ds_read2_b64 v[185:188], v104 offset0:54 offset1:145
	v_add_co_u32 v98, s1, 0x2aa8, v128
	v_add_co_ci_u32_e64 v99, s1, 0, v129, s1
	v_add_co_u32 v157, s1, 0x2800, v128
	v_lshl_add_u32 v166, v164, 3, v165
	v_add_co_ci_u32_e64 v158, s1, 0, v129, s1
	v_add_co_u32 v101, s1, 0x3000, v128
	v_add_co_ci_u32_e64 v102, s1, 0, v129, s1
	v_add_co_u32 v105, s1, 0x3800, v128
	v_add_nc_u32_e32 v100, 0xc00, v166
	v_add_nc_u32_e32 v103, 0x1800, v166
	v_add_co_ci_u32_e64 v106, s1, 0, v129, s1
	s_waitcnt vmcnt(4) lgkmcnt(7)
	v_mul_f32_e32 v107, v97, v77
	v_mul_f32_e32 v119, v96, v77
	s_waitcnt lgkmcnt(6)
	v_mul_f32_e32 v161, v112, v79
	v_mul_f32_e32 v162, v111, v79
	s_waitcnt vmcnt(3) lgkmcnt(5)
	v_mul_f32_e32 v189, v116, v73
	v_mul_f32_e32 v190, v115, v73
	;; [unrolled: 1-line block ×4, first 2 shown]
	s_waitcnt vmcnt(2)
	v_mul_f32_e32 v193, v118, v69
	v_mul_f32_e32 v194, v117, v69
	s_waitcnt lgkmcnt(4)
	v_mul_f32_e32 v195, v174, v71
	v_mul_f32_e32 v196, v173, v71
	s_waitcnt vmcnt(1) lgkmcnt(3)
	v_mul_f32_e32 v197, v178, v65
	v_mul_f32_e32 v198, v177, v65
	;; [unrolled: 1-line block ×4, first 2 shown]
	s_waitcnt vmcnt(0)
	v_mul_f32_e32 v201, v180, v61
	v_mul_f32_e32 v202, v179, v61
	s_waitcnt lgkmcnt(1)
	v_mul_f32_e32 v203, v93, v63
	v_mul_f32_e32 v204, v92, v63
	v_fma_f32 v96, v96, v76, -v107
	v_fmac_f32_e32 v119, v97, v76
	v_fma_f32 v97, v111, v78, -v161
	v_fmac_f32_e32 v162, v112, v78
	;; [unrolled: 2-line block ×10, first 2 shown]
	v_add_f32_e32 v116, v96, v97
	v_add_f32_e32 v118, v119, v162
	;; [unrolled: 1-line block ×9, first 2 shown]
	v_sub_f32_e32 v197, v198, v200
	s_waitcnt lgkmcnt(0)
	v_add_f32_e32 v199, v188, v198
	v_add_f32_e32 v198, v198, v200
	v_add_f32_e32 v205, v114, v92
	v_sub_f32_e32 v206, v202, v204
	v_add_f32_e32 v207, v95, v202
	v_add_f32_e32 v202, v202, v204
	v_add_f32_e32 v173, v183, v107
	v_sub_f32_e32 v178, v190, v192
	;; [unrolled: 4-line block ×3, first 2 shown]
	v_sub_f32_e32 v119, v96, v97
	v_sub_f32_e32 v107, v107, v113
	;; [unrolled: 1-line block ×4, first 2 shown]
	v_add_f32_e32 v194, v187, v112
	v_sub_f32_e32 v201, v112, v161
	v_fma_f32 v111, -0.5, v116, v181
	v_fma_f32 v112, -0.5, v118, v182
	;; [unrolled: 1-line block ×3, first 2 shown]
	v_fmac_f32_e32 v184, -0.5, v177
	v_add_f32_e32 v96, v93, v97
	v_add_f32_e32 v97, v117, v162
	v_fma_f32 v117, -0.5, v180, v185
	v_fma_f32 v118, -0.5, v191, v186
	v_add_f32_e32 v203, v94, v114
	v_sub_f32_e32 v208, v114, v92
	v_fma_f32 v187, -0.5, v195, v187
	v_fmac_f32_e32 v188, -0.5, v198
	v_fma_f32 v94, -0.5, v205, v94
	v_fmac_f32_e32 v95, -0.5, v202
	v_add_f32_e32 v113, v173, v113
	v_add_f32_e32 v114, v175, v192
	;; [unrolled: 1-line block ×4, first 2 shown]
	v_fmamk_f32 v175, v176, 0x3f5db3d7, v111
	v_fmac_f32_e32 v111, 0xbf5db3d7, v176
	v_fmamk_f32 v176, v119, 0xbf5db3d7, v112
	v_fmamk_f32 v177, v178, 0x3f5db3d7, v183
	v_fmac_f32_e32 v183, 0xbf5db3d7, v178
	v_fmamk_f32 v178, v107, 0xbf5db3d7, v184
	v_fmac_f32_e32 v112, 0x3f5db3d7, v119
	v_fmac_f32_e32 v184, 0x3f5db3d7, v107
	v_fmamk_f32 v179, v189, 0x3f5db3d7, v117
	v_fmamk_f32 v180, v193, 0xbf5db3d7, v118
	v_add_f32_e32 v161, v194, v161
	v_add_f32_e32 v162, v199, v200
	;; [unrolled: 1-line block ×4, first 2 shown]
	v_fmac_f32_e32 v117, 0xbf5db3d7, v189
	v_fmac_f32_e32 v118, 0x3f5db3d7, v193
	v_fmamk_f32 v181, v197, 0x3f5db3d7, v187
	v_fmac_f32_e32 v187, 0xbf5db3d7, v197
	v_fmamk_f32 v182, v201, 0xbf5db3d7, v188
	;; [unrolled: 2-line block ×4, first 2 shown]
	v_fmac_f32_e32 v95, 0x3f5db3d7, v208
	ds_write_b64 v163, v[96:97]
	ds_write2_b64 v166, v[113:114], v[115:116] offset0:91 offset1:182
	ds_write2_b64 v100, v[175:176], v[177:178] offset0:71 offset1:162
	;; [unrolled: 1-line block ×3, first 2 shown]
	ds_write_b64 v163, v[179:180] offset:5096
	ds_write_b64 v163, v[117:118] offset:8736
	;; [unrolled: 1-line block ×8, first 2 shown]
	v_add_co_u32 v96, s1, 0x4000, v128
	v_add_co_ci_u32_e64 v97, s1, 0, v129, s1
	v_add_co_u32 v111, s1, 0x4800, v128
	v_add_co_ci_u32_e64 v112, s1, 0, v129, s1
	s_waitcnt lgkmcnt(0)
	s_barrier
	buffer_gl0_inv
	s_clause 0x9
	global_load_dwordx2 v[161:162], v[157:158], off offset:680
	global_load_dwordx2 v[189:190], v[98:99], off offset:840
	;; [unrolled: 1-line block ×10, first 2 shown]
	v_add_co_u32 v96, s1, 0x5000, v128
	v_add_co_ci_u32_e64 v97, s1, 0, v129, s1
	s_clause 0x2
	global_load_dwordx2 v[203:204], v[111:112], off offset:888
	global_load_dwordx2 v[205:206], v[111:112], off offset:1728
	;; [unrolled: 1-line block ×3, first 2 shown]
	ds_read2_b64 v[111:114], v163 offset1:105
	v_add_nc_u32_e32 v96, 0xc00, v163
	ds_read2_b64 v[115:118], v104 offset0:82 offset1:187
	ds_read2_b64 v[173:176], v96 offset0:36 offset1:141
	;; [unrolled: 1-line block ×5, first 2 shown]
	ds_read_b64 v[209:210], v163 offset:10080
	s_waitcnt vmcnt(11) lgkmcnt(6)
	v_mul_f32_e32 v211, v114, v190
	v_mul_f32_e32 v107, v113, v190
	;; [unrolled: 1-line block ×4, first 2 shown]
	s_waitcnt vmcnt(10) lgkmcnt(5)
	v_mul_f32_e32 v212, v116, v192
	v_mul_f32_e32 v162, v115, v192
	s_waitcnt vmcnt(9)
	v_mul_f32_e32 v213, v118, v194
	v_mul_f32_e32 v190, v117, v194
	s_waitcnt vmcnt(8) lgkmcnt(4)
	v_mul_f32_e32 v214, v174, v102
	v_mul_f32_e32 v119, v173, v102
	s_waitcnt vmcnt(7)
	v_mul_f32_e32 v215, v176, v196
	v_mul_f32_e32 v192, v175, v196
	;; [unrolled: 6-line block ×5, first 2 shown]
	s_waitcnt vmcnt(0) lgkmcnt(0)
	v_mul_f32_e32 v222, v210, v208
	v_mul_f32_e32 v206, v209, v208
	v_fma_f32 v102, v111, v161, -v97
	v_fmac_f32_e32 v103, v112, v161
	v_fma_f32 v106, v113, v189, -v211
	v_fmac_f32_e32 v107, v114, v189
	;; [unrolled: 2-line block ×13, first 2 shown]
	ds_write2_b64 v163, v[102:103], v[106:107] offset1:105
	ds_write2_b64 v104, v[161:162], v[189:190] offset0:82 offset1:187
	ds_write2_b64 v96, v[118:119], v[191:192] offset0:36 offset1:141
	;; [unrolled: 1-line block ×5, first 2 shown]
	ds_write_b64 v163, v[205:206] offset:10080
	s_and_saveexec_b32 s4, vcc_lo
	s_cbranch_execz .LBB0_13
; %bb.12:
	v_add_co_u32 v101, s1, 0x800, v98
	v_add_co_ci_u32_e64 v102, s1, 0, v99, s1
	v_add_co_u32 v111, s1, 0x1000, v98
	v_add_co_ci_u32_e64 v112, s1, 0, v99, s1
	;; [unrolled: 2-line block ×3, first 2 shown]
	v_add_co_u32 v115, s1, 0x2000, v98
	s_clause 0x4
	global_load_dwordx2 v[105:106], v[98:99], off offset:728
	global_load_dwordx2 v[161:162], v[98:99], off offset:1568
	;; [unrolled: 1-line block ×5, first 2 shown]
	v_add_co_ci_u32_e64 v116, s1, 0, v99, s1
	v_add_co_u32 v97, s1, 0x2800, v98
	v_add_co_ci_u32_e64 v98, s1, 0, v99, s1
	s_clause 0x7
	global_load_dwordx2 v[193:194], v[111:112], off offset:832
	global_load_dwordx2 v[195:196], v[111:112], off offset:1672
	;; [unrolled: 1-line block ×8, first 2 shown]
	ds_read2_b64 v[111:114], v166 offset0:91 offset1:196
	v_add_nc_u32_e32 v211, 0x800, v166
	v_add_nc_u32_e32 v212, 0x1400, v166
	;; [unrolled: 1-line block ×4, first 2 shown]
	ds_read2_b64 v[173:176], v100 offset0:127 offset1:232
	ds_read2_b64 v[115:118], v211 offset0:45 offset1:150
	ds_read2_b64 v[177:180], v212 offset0:81 offset1:186
	ds_read_b64 v[207:208], v166 offset:10808
	ds_read2_b64 v[181:184], v213 offset0:35 offset1:140
	ds_read2_b64 v[185:188], v214 offset0:117 offset1:222
	s_waitcnt vmcnt(12) lgkmcnt(6)
	v_mul_f32_e32 v99, v112, v106
	v_mul_f32_e32 v107, v111, v106
	s_waitcnt vmcnt(11)
	v_mul_f32_e32 v103, v114, v162
	v_mul_f32_e32 v210, v113, v162
	v_fma_f32 v106, v111, v105, -v99
	v_fmac_f32_e32 v107, v112, v105
	v_fma_f32 v209, v113, v161, -v103
	s_waitcnt vmcnt(10) lgkmcnt(4)
	v_mul_f32_e32 v105, v116, v190
	v_mul_f32_e32 v99, v115, v190
	s_waitcnt vmcnt(9)
	v_mul_f32_e32 v111, v118, v192
	v_mul_f32_e32 v103, v117, v192
	v_fmac_f32_e32 v210, v114, v161
	s_waitcnt vmcnt(8)
	v_mul_f32_e32 v113, v174, v102
	v_mul_f32_e32 v112, v173, v102
	s_waitcnt vmcnt(7)
	v_mul_f32_e32 v161, v176, v194
	v_mul_f32_e32 v114, v175, v194
	s_waitcnt vmcnt(6) lgkmcnt(3)
	v_mul_f32_e32 v215, v178, v196
	v_mul_f32_e32 v119, v177, v196
	s_waitcnt vmcnt(5)
	v_mul_f32_e32 v216, v180, v198
	v_mul_f32_e32 v162, v179, v198
	s_waitcnt vmcnt(4) lgkmcnt(1)
	;; [unrolled: 6-line block ×3, first 2 shown]
	v_mul_f32_e32 v202, v186, v204
	v_mul_f32_e32 v194, v185, v204
	s_waitcnt vmcnt(1)
	v_mul_f32_e32 v204, v188, v206
	v_mul_f32_e32 v196, v187, v206
	s_waitcnt vmcnt(0)
	v_mul_f32_e32 v206, v208, v98
	v_mul_f32_e32 v198, v207, v98
	v_fma_f32 v98, v115, v189, -v105
	v_fmac_f32_e32 v99, v116, v189
	v_fma_f32 v102, v117, v191, -v111
	v_fmac_f32_e32 v103, v118, v191
	;; [unrolled: 2-line block ×10, first 2 shown]
	ds_write2_b64 v166, v[106:107], v[209:210] offset0:91 offset1:196
	v_fma_f32 v197, v207, v97, -v206
	v_fmac_f32_e32 v198, v208, v97
	ds_write2_b64 v211, v[98:99], v[102:103] offset0:45 offset1:150
	ds_write2_b64 v100, v[111:112], v[113:114] offset0:127 offset1:232
	;; [unrolled: 1-line block ×5, first 2 shown]
	ds_write_b64 v166, v[197:198] offset:10808
.LBB0_13:
	s_or_b32 exec_lo, exec_lo, s4
	s_waitcnt lgkmcnt(0)
	s_barrier
	buffer_gl0_inv
	ds_read2_b64 v[100:103], v163 offset1:105
	ds_read2_b64 v[104:107], v104 offset0:82 offset1:187
	ds_read2_b64 v[116:119], v96 offset0:36 offset1:141
	;; [unrolled: 1-line block ×5, first 2 shown]
	ds_read_b64 v[161:162], v163 offset:10080
	s_and_saveexec_b32 s1, vcc_lo
	s_cbranch_execz .LBB0_15
; %bb.14:
	v_add_nc_u32_e32 v44, 0x800, v166
	v_add_nc_u32_e32 v45, 0xc00, v166
	v_add_nc_u32_e32 v46, 0x1400, v166
	v_add_nc_u32_e32 v47, 0x1c00, v166
	ds_read2_b64 v[92:95], v166 offset0:91 offset1:196
	ds_read2_b64 v[84:87], v44 offset0:45 offset1:150
	v_add_nc_u32_e32 v44, 0x2000, v166
	ds_read2_b64 v[88:91], v45 offset0:127 offset1:232
	ds_read2_b64 v[80:83], v46 offset0:81 offset1:186
	;; [unrolled: 1-line block ×3, first 2 shown]
	ds_read_b64 v[159:160], v166 offset:10808
	ds_read2_b64 v[44:47], v44 offset0:117 offset1:222
.LBB0_15:
	s_or_b32 exec_lo, exec_lo, s1
	s_waitcnt lgkmcnt(6)
	v_add_f32_e32 v173, v100, v102
	v_add_f32_e32 v174, v101, v103
	s_waitcnt lgkmcnt(2)
	v_sub_f32_e32 v176, v119, v113
	s_waitcnt lgkmcnt(0)
	s_barrier
	v_add_f32_e32 v173, v173, v104
	v_add_f32_e32 v174, v174, v105
	buffer_gl0_inv
	v_mul_f32_e32 v207, 0x3f7e222b, v176
	v_mul_f32_e32 v223, 0x3e750f2a, v176
	v_add_f32_e32 v173, v173, v106
	v_add_f32_e32 v174, v174, v107
	v_sub_f32_e32 v236, v91, v53
	v_sub_f32_e32 v237, v90, v52
	;; [unrolled: 1-line block ×3, first 2 shown]
	v_add_f32_e32 v175, v173, v116
	v_add_f32_e32 v174, v174, v117
	v_sub_f32_e32 v173, v117, v115
	v_add_f32_e32 v117, v115, v117
	v_sub_f32_e32 v239, v80, v82
	v_add_f32_e32 v177, v175, v118
	v_add_f32_e32 v178, v174, v119
	;; [unrolled: 1-line block ×3, first 2 shown]
	v_sub_f32_e32 v118, v118, v112
	v_add_f32_e32 v119, v113, v119
	v_add_f32_e32 v177, v177, v96
	;; [unrolled: 1-line block ×4, first 2 shown]
	v_sub_f32_e32 v116, v116, v114
	v_mul_f32_e32 v205, 0x3f29c268, v173
	v_add_f32_e32 v177, v177, v98
	v_add_f32_e32 v178, v178, v99
	v_mul_f32_e32 v206, 0xbf3f9e67, v117
	v_mul_f32_e32 v208, 0x3df6dbef, v119
	;; [unrolled: 1-line block ×3, first 2 shown]
	v_add_f32_e32 v112, v177, v112
	v_add_f32_e32 v113, v178, v113
	v_sub_f32_e32 v177, v105, v111
	v_mul_f32_e32 v222, 0x3df6dbef, v117
	v_mul_f32_e32 v224, 0xbf788fa5, v119
	v_add_f32_e32 v178, v112, v114
	v_add_f32_e32 v179, v113, v115
	;; [unrolled: 1-line block ×4, first 2 shown]
	v_sub_f32_e32 v113, v104, v110
	v_add_f32_e32 v105, v108, v106
	v_sub_f32_e32 v104, v106, v108
	v_add_f32_e32 v106, v178, v108
	v_add_f32_e32 v108, v179, v109
	v_sub_f32_e32 v112, v107, v109
	v_add_f32_e32 v107, v109, v107
	v_mul_f32_e32 v211, 0xbe750f2a, v177
	v_add_f32_e32 v193, v106, v110
	v_sub_f32_e32 v106, v103, v162
	v_add_f32_e32 v194, v108, v111
	v_add_f32_e32 v108, v161, v102
	;; [unrolled: 1-line block ×3, first 2 shown]
	v_sub_f32_e32 v102, v102, v161
	v_mul_f32_e32 v109, 0xbeedf032, v106
	v_mul_f32_e32 v111, 0xbf52af12, v106
	;; [unrolled: 1-line block ×6, first 2 shown]
	v_fmamk_f32 v110, v108, 0x3f62ad3f, v109
	v_fma_f32 v109, 0x3f62ad3f, v108, -v109
	v_fmamk_f32 v178, v108, 0x3f116cb1, v111
	v_fma_f32 v111, 0x3f116cb1, v108, -v111
	;; [unrolled: 2-line block ×6, first 2 shown]
	v_mul_f32_e32 v106, 0x3f62ad3f, v103
	v_mul_f32_e32 v187, 0x3f116cb1, v103
	;; [unrolled: 1-line block ×5, first 2 shown]
	v_fmamk_f32 v181, v102, 0x3eedf032, v106
	v_fmamk_f32 v182, v102, 0x3f52af12, v187
	v_fmac_f32_e32 v187, 0xbf52af12, v102
	v_fmamk_f32 v189, v102, 0x3f7e222b, v188
	v_fmac_f32_e32 v188, 0xbf7e222b, v102
	v_mul_f32_e32 v200, 0xbf788fa5, v103
	v_fmamk_f32 v103, v102, 0x3f6f5d39, v198
	v_add_f32_e32 v203, v100, v110
	v_add_f32_e32 v204, v101, v181
	;; [unrolled: 1-line block ×18, first 2 shown]
	v_mul_f32_e32 v193, 0xbf52af12, v177
	v_fmac_f32_e32 v106, 0xbeedf032, v102
	v_fmac_f32_e32 v198, 0xbf6f5d39, v102
	v_fmamk_f32 v201, v102, 0x3f29c268, v199
	v_fmac_f32_e32 v199, 0xbf29c268, v102
	v_fmamk_f32 v202, v102, 0x3e750f2a, v200
	v_fmac_f32_e32 v200, 0xbe750f2a, v102
	v_add_f32_e32 v161, v98, v96
	v_sub_f32_e32 v98, v96, v98
	v_fmamk_f32 v96, v114, 0x3f116cb1, v193
	v_mul_f32_e32 v195, 0xbf7e222b, v112
	v_add_f32_e32 v183, v101, v106
	v_add_f32_e32 v189, v101, v189
	;; [unrolled: 1-line block ×9, first 2 shown]
	v_mul_f32_e32 v194, 0x3f116cb1, v115
	v_fmamk_f32 v196, v105, 0x3df6dbef, v195
	v_sub_f32_e32 v162, v97, v99
	v_add_f32_e32 v99, v99, v97
	v_mul_f32_e32 v220, 0x3f62ad3f, v107
	v_fmamk_f32 v97, v113, 0x3f52af12, v194
	v_add_f32_e32 v96, v196, v96
	v_mul_f32_e32 v196, 0x3df6dbef, v107
	v_mul_f32_e32 v209, 0x3eedf032, v162
	;; [unrolled: 1-line block ×3, first 2 shown]
	v_add_f32_e32 v97, v97, v204
	v_mul_f32_e32 v204, 0xbf788fa5, v107
	v_fmamk_f32 v197, v104, 0x3f7e222b, v196
	v_mul_f32_e32 v225, 0x3f52af12, v162
	v_mul_f32_e32 v226, 0x3f116cb1, v99
	;; [unrolled: 1-line block ×3, first 2 shown]
	v_fmac_f32_e32 v194, 0xbf52af12, v113
	v_add_f32_e32 v97, v197, v97
	v_mul_f32_e32 v197, 0xbf6f5d39, v173
	v_fmac_f32_e32 v196, 0xbf7e222b, v104
	v_fmamk_f32 v198, v174, 0xbeb58ec6, v197
	v_add_f32_e32 v96, v198, v96
	v_mul_f32_e32 v198, 0xbeb58ec6, v117
	v_fmamk_f32 v199, v116, 0x3f6f5d39, v198
	v_fmac_f32_e32 v198, 0xbf6f5d39, v116
	v_add_f32_e32 v97, v199, v97
	v_mul_f32_e32 v199, 0xbf29c268, v176
	v_fmamk_f32 v200, v175, 0xbf3f9e67, v199
	v_add_f32_e32 v96, v200, v96
	v_mul_f32_e32 v200, 0xbf3f9e67, v119
	v_fmamk_f32 v201, v118, 0x3f29c268, v200
	v_fmac_f32_e32 v200, 0xbf29c268, v118
	v_add_f32_e32 v97, v201, v97
	v_mul_f32_e32 v201, 0xbe750f2a, v162
	;; [unrolled: 7-line block ×3, first 2 shown]
	ds_write2_b64 v172, v[100:101], v[96:97] offset1:1
	v_fmamk_f32 v96, v114, 0xbeb58ec6, v203
	v_add_f32_e32 v96, v96, v192
	v_mul_f32_e32 v192, 0xbeb58ec6, v115
	v_fmamk_f32 v97, v113, 0x3f6f5d39, v192
	v_fmac_f32_e32 v192, 0xbf6f5d39, v113
	v_add_f32_e32 v97, v97, v191
	v_mul_f32_e32 v191, 0xbe750f2a, v112
	v_fmamk_f32 v100, v105, 0xbf788fa5, v191
	v_add_f32_e32 v96, v100, v96
	v_fmamk_f32 v100, v104, 0x3e750f2a, v204
	v_fmac_f32_e32 v204, 0xbe750f2a, v104
	v_add_f32_e32 v97, v100, v97
	v_fmamk_f32 v100, v174, 0xbf3f9e67, v205
	v_add_f32_e32 v96, v100, v96
	v_fmamk_f32 v100, v116, 0xbf29c268, v206
	v_fmac_f32_e32 v206, 0x3f29c268, v116
	v_add_f32_e32 v97, v100, v97
	;; [unrolled: 5-line block ×4, first 2 shown]
	v_fmamk_f32 v100, v114, 0xbf788fa5, v211
	v_add_f32_e32 v100, v100, v190
	v_mul_f32_e32 v190, 0xbf788fa5, v115
	v_fmamk_f32 v101, v113, 0x3e750f2a, v190
	v_fmac_f32_e32 v190, 0xbe750f2a, v113
	v_add_f32_e32 v101, v101, v189
	v_mul_f32_e32 v189, 0x3f6f5d39, v112
	v_fmamk_f32 v212, v105, 0xbeb58ec6, v189
	v_add_f32_e32 v100, v212, v100
	v_mul_f32_e32 v212, 0xbeb58ec6, v107
	v_fmamk_f32 v213, v104, 0xbf6f5d39, v212
	v_fmac_f32_e32 v212, 0x3f6f5d39, v104
	v_add_f32_e32 v101, v213, v101
	v_mul_f32_e32 v213, 0x3eedf032, v173
	;; [unrolled: 7-line block ×5, first 2 shown]
	ds_write2_b64 v172, v[96:97], v[100:101] offset0:2 offset1:3
	v_fmamk_f32 v96, v114, 0xbf3f9e67, v219
	v_add_f32_e32 v96, v96, v188
	v_mul_f32_e32 v188, 0xbf3f9e67, v115
	v_fmamk_f32 v97, v113, 0xbf29c268, v188
	v_fmac_f32_e32 v188, 0x3f29c268, v113
	v_add_f32_e32 v97, v97, v187
	v_mul_f32_e32 v187, 0x3eedf032, v112
	v_fmamk_f32 v100, v105, 0x3f62ad3f, v187
	v_add_f32_e32 v96, v100, v96
	v_fmamk_f32 v100, v104, 0xbeedf032, v220
	v_fmac_f32_e32 v220, 0x3eedf032, v104
	v_add_f32_e32 v97, v100, v97
	v_fmamk_f32 v100, v174, 0x3df6dbef, v221
	v_add_f32_e32 v96, v100, v96
	v_fmamk_f32 v100, v116, 0x3f7e222b, v222
	v_fmac_f32_e32 v222, 0xbf7e222b, v116
	v_add_f32_e32 v97, v100, v97
	;; [unrolled: 5-line block ×4, first 2 shown]
	v_fmamk_f32 v100, v114, 0x3df6dbef, v227
	v_add_f32_e32 v100, v100, v186
	v_mul_f32_e32 v186, 0x3df6dbef, v115
	v_fmamk_f32 v101, v113, 0xbf7e222b, v186
	v_fmac_f32_e32 v186, 0x3f7e222b, v113
	v_add_f32_e32 v101, v101, v185
	v_mul_f32_e32 v185, 0xbf52af12, v112
	v_add_f32_e32 v102, v186, v102
	v_fmamk_f32 v228, v105, 0x3f116cb1, v185
	v_add_f32_e32 v100, v228, v100
	v_mul_f32_e32 v228, 0x3f116cb1, v107
	v_mul_f32_e32 v107, 0xbf3f9e67, v107
	v_fmamk_f32 v229, v104, 0x3f52af12, v228
	v_fmac_f32_e32 v228, 0xbf52af12, v104
	v_add_f32_e32 v101, v229, v101
	v_mul_f32_e32 v229, 0x3e750f2a, v173
	v_add_f32_e32 v102, v228, v102
	v_fmamk_f32 v230, v174, 0xbf788fa5, v229
	v_add_f32_e32 v100, v230, v100
	v_mul_f32_e32 v230, 0xbf788fa5, v117
	v_fmamk_f32 v231, v116, 0xbe750f2a, v230
	v_fmac_f32_e32 v230, 0x3e750f2a, v116
	v_add_f32_e32 v101, v231, v101
	v_mul_f32_e32 v231, 0x3eedf032, v176
	v_add_f32_e32 v102, v230, v102
	v_fmamk_f32 v232, v175, 0x3f62ad3f, v231
	v_add_f32_e32 v100, v232, v100
	v_mul_f32_e32 v232, 0x3f62ad3f, v119
	v_fmamk_f32 v233, v118, 0xbeedf032, v232
	v_fmac_f32_e32 v232, 0x3eedf032, v118
	v_add_f32_e32 v101, v233, v101
	v_mul_f32_e32 v233, 0xbf6f5d39, v162
	v_fmamk_f32 v234, v161, 0xbeb58ec6, v233
	v_add_f32_e32 v100, v234, v100
	v_mul_f32_e32 v234, 0xbeb58ec6, v99
	v_mul_f32_e32 v99, 0x3df6dbef, v99
	v_fmamk_f32 v235, v98, 0x3f6f5d39, v234
	v_fmac_f32_e32 v234, 0xbf6f5d39, v98
	v_add_f32_e32 v101, v235, v101
	v_sub_f32_e32 v235, v88, v54
	ds_write2_b64 v172, v[96:97], v[100:101] offset0:4 offset1:5
	v_fma_f32 v96, 0x3f116cb1, v114, -v193
	v_fma_f32 v100, 0x3df6dbef, v105, -v195
	v_add_f32_e32 v97, v194, v183
	v_add_f32_e32 v193, v160, v95
	v_mul_f32_e32 v194, 0xbf29c268, v238
	v_add_f32_e32 v96, v96, v184
	v_add_f32_e32 v97, v196, v97
	v_add_f32_e32 v96, v100, v96
	v_fma_f32 v100, 0xbeb58ec6, v174, -v197
	v_add_f32_e32 v97, v198, v97
	v_mul_f32_e32 v198, 0xbf52af12, v236
	v_add_f32_e32 v96, v100, v96
	v_fma_f32 v100, 0xbf3f9e67, v175, -v199
	v_add_f32_e32 v97, v200, v97
	v_add_f32_e32 v96, v100, v96
	v_fma_f32 v100, 0xbf788fa5, v161, -v201
	v_add_f32_e32 v101, v202, v97
	;; [unrolled: 3-line block ×4, first 2 shown]
	v_mul_f32_e32 v201, 0x3eedf032, v235
	v_mul_f32_e32 v202, 0xbf52af12, v237
	ds_write_b64 v172, v[100:101] offset:96
	v_add_f32_e32 v96, v96, v182
	v_add_f32_e32 v97, v206, v97
	v_mul_f32_e32 v203, 0xbf29c268, v239
	v_add_f32_e32 v96, v181, v96
	v_fma_f32 v181, 0xbf3f9e67, v174, -v205
	v_add_f32_e32 v97, v208, v97
	v_mul_f32_e32 v208, 0x3e750f2a, v236
	v_add_f32_e32 v96, v181, v96
	v_fma_f32 v181, 0x3df6dbef, v175, -v207
	v_add_f32_e32 v182, v210, v97
	v_add_f32_e32 v97, v188, v179
	v_fma_f32 v179, 0x3f62ad3f, v105, -v187
	v_add_f32_e32 v96, v181, v96
	v_fma_f32 v181, 0x3f62ad3f, v161, -v209
	v_add_f32_e32 v97, v220, v97
	v_mul_f32_e32 v209, 0x3f52af12, v238
	v_add_f32_e32 v181, v181, v96
	v_fma_f32 v96, 0xbf3f9e67, v114, -v219
	v_add_f32_e32 v97, v222, v97
	v_add_f32_e32 v96, v96, v180
	;; [unrolled: 1-line block ×3, first 2 shown]
	v_mul_f32_e32 v224, 0x3eedf032, v237
	v_add_f32_e32 v96, v179, v96
	v_fma_f32 v179, 0x3df6dbef, v174, -v221
	v_add_f32_e32 v180, v226, v97
	v_add_f32_e32 v97, v190, v110
	v_fma_f32 v110, 0x3df6dbef, v114, -v227
	v_mul_f32_e32 v190, 0x3f7e222b, v237
	v_add_f32_e32 v96, v179, v96
	v_fma_f32 v179, 0xbf788fa5, v175, -v223
	v_add_f32_e32 v97, v212, v97
	v_add_f32_e32 v110, v110, v178
	;; [unrolled: 1-line block ×4, first 2 shown]
	v_fma_f32 v179, 0x3f116cb1, v161, -v225
	v_add_f32_e32 v97, v214, v97
	v_mul_f32_e32 v214, 0x3e750f2a, v237
	v_mul_f32_e32 v225, 0x3e750f2a, v235
	v_add_f32_e32 v179, v179, v96
	v_fma_f32 v96, 0xbf788fa5, v114, -v211
	v_mul_f32_e32 v211, 0x3f52af12, v239
	v_add_f32_e32 v96, v96, v111
	v_mul_f32_e32 v111, 0x3eedf032, v177
	v_fmamk_f32 v177, v114, 0x3f62ad3f, v111
	v_fma_f32 v111, 0x3f62ad3f, v114, -v111
	v_mul_f32_e32 v114, 0x3f62ad3f, v115
	v_add_f32_e32 v103, v177, v103
	v_add_f32_e32 v108, v111, v108
	v_fma_f32 v111, 0xbeb58ec6, v105, -v189
	v_fmamk_f32 v115, v113, 0xbeedf032, v114
	v_fmac_f32_e32 v114, 0x3eedf032, v113
	v_sub_f32_e32 v113, v94, v159
	v_add_f32_e32 v177, v53, v91
	v_add_f32_e32 v96, v111, v96
	v_fma_f32 v111, 0x3f116cb1, v105, -v185
	v_add_f32_e32 v106, v115, v106
	v_add_f32_e32 v109, v114, v109
	v_mul_f32_e32 v192, 0xbeedf032, v113
	v_add_f32_e32 v114, v47, v85
	v_add_f32_e32 v110, v111, v110
	v_mul_f32_e32 v111, 0xbf29c268, v112
	v_mul_f32_e32 v189, 0x3f29c268, v235
	;; [unrolled: 1-line block ×5, first 2 shown]
	v_fmamk_f32 v112, v105, 0xbf3f9e67, v111
	v_fma_f32 v105, 0xbf3f9e67, v105, -v111
	v_fmamk_f32 v111, v104, 0x3f29c268, v107
	v_fmac_f32_e32 v107, 0xbf29c268, v104
	v_add_f32_e32 v103, v112, v103
	v_add_f32_e32 v105, v105, v108
	v_add_f32_e32 v104, v111, v106
	v_add_f32_e32 v106, v107, v109
	v_fma_f32 v107, 0x3f62ad3f, v174, -v213
	v_mul_f32_e32 v108, 0x3f52af12, v173
	v_add_f32_e32 v112, v232, v102
	v_fma_f32 v102, 0xbeb58ec6, v161, -v233
	v_sub_f32_e32 v232, v84, v46
	v_add_f32_e32 v96, v107, v96
	v_fma_f32 v107, 0xbf788fa5, v174, -v229
	v_fmamk_f32 v109, v174, 0x3f116cb1, v108
	v_fma_f32 v108, 0x3f116cb1, v174, -v108
	v_sub_f32_e32 v233, v86, v44
	v_add_f32_e32 v173, v54, v88
	v_add_f32_e32 v107, v107, v110
	v_mul_f32_e32 v110, 0x3f116cb1, v117
	v_add_f32_e32 v105, v108, v105
	v_fma_f32 v108, 0x3f116cb1, v175, -v215
	v_add_f32_e32 v103, v109, v103
	v_mul_f32_e32 v109, 0xbf6f5d39, v176
	v_fmamk_f32 v111, v116, 0xbf52af12, v110
	v_fmac_f32_e32 v110, 0x3f52af12, v116
	v_add_f32_e32 v108, v108, v96
	v_fma_f32 v96, 0x3f62ad3f, v175, -v231
	v_add_f32_e32 v117, v44, v86
	v_add_f32_e32 v104, v111, v104
	;; [unrolled: 1-line block ×3, first 2 shown]
	v_mul_f32_e32 v110, 0xbeb58ec6, v119
	v_add_f32_e32 v96, v96, v107
	v_add_f32_e32 v111, v216, v97
	v_fmamk_f32 v97, v175, 0xbeb58ec6, v109
	v_fma_f32 v109, 0xbeb58ec6, v175, -v109
	v_fmamk_f32 v107, v118, 0x3f6f5d39, v110
	v_fmac_f32_e32 v110, 0xbf6f5d39, v118
	v_add_f32_e32 v102, v102, v96
	v_add_f32_e32 v97, v97, v103
	;; [unrolled: 1-line block ×4, first 2 shown]
	v_mul_f32_e32 v107, 0x3f7e222b, v162
	v_add_f32_e32 v106, v110, v106
	v_add_f32_e32 v103, v234, v112
	v_fmamk_f32 v110, v98, 0xbf7e222b, v99
	v_sub_f32_e32 v112, v95, v160
	v_fmamk_f32 v96, v161, 0x3df6dbef, v107
	v_fma_f32 v107, 0x3df6dbef, v161, -v107
	v_fmac_f32_e32 v99, 0x3f7e222b, v98
	v_fma_f32 v109, 0xbf3f9e67, v161, -v217
	v_mul_f32_e32 v187, 0xbeedf032, v112
	v_add_f32_e32 v96, v96, v97
	v_add_f32_e32 v97, v110, v104
	;; [unrolled: 1-line block ×4, first 2 shown]
	v_sub_f32_e32 v110, v85, v47
	v_fma_f32 v105, 0x3f62ad3f, v193, -v192
	v_add_f32_e32 v104, v109, v108
	ds_write2_b64 v172, v[102:103], v[179:180] offset0:8 offset1:9
	ds_write2_b64 v172, v[96:97], v[98:99] offset0:6 offset1:7
	v_fmamk_f32 v99, v191, 0x3f62ad3f, v187
	v_add_f32_e32 v98, v46, v84
	v_mul_f32_e32 v96, 0xbf52af12, v110
	v_add_f32_e32 v106, v93, v105
	v_add_f32_e32 v105, v218, v111
	;; [unrolled: 1-line block ×3, first 2 shown]
	v_sub_f32_e32 v111, v87, v45
	v_fmamk_f32 v107, v98, 0x3f116cb1, v96
	v_mul_f32_e32 v97, 0xbf52af12, v232
	v_sub_f32_e32 v234, v89, v55
	ds_write2_b64 v172, v[104:105], v[181:182] offset0:10 offset1:11
	v_add_f32_e32 v162, v45, v87
	v_add_f32_e32 v102, v107, v99
	v_mul_f32_e32 v99, 0xbf7e222b, v111
	v_fma_f32 v108, 0x3f116cb1, v114, -v97
	v_mul_f32_e32 v116, 0xbf7e222b, v233
	v_mul_f32_e32 v115, 0xbf6f5d39, v234
	v_add_f32_e32 v175, v55, v89
	v_fmamk_f32 v104, v117, 0x3df6dbef, v99
	v_add_f32_e32 v103, v108, v106
	v_fma_f32 v100, 0x3df6dbef, v162, -v116
	v_mul_f32_e32 v118, 0xbf6f5d39, v235
	v_add_f32_e32 v176, v52, v90
	v_add_f32_e32 v101, v104, v102
	v_fmamk_f32 v102, v173, 0xbeb58ec6, v115
	v_add_f32_e32 v100, v100, v103
	v_mul_f32_e32 v119, 0xbf29c268, v236
	v_mul_f32_e32 v172, 0xbf29c268, v237
	;; [unrolled: 1-line block ×3, first 2 shown]
	v_add_f32_e32 v101, v102, v101
	v_fma_f32 v102, 0xbeb58ec6, v175, -v118
	v_add_f32_e32 v179, v83, v81
	v_mul_f32_e32 v174, 0xbe750f2a, v239
	v_mul_f32_e32 v207, 0xbf52af12, v112
	;; [unrolled: 1-line block ×3, first 2 shown]
	v_add_f32_e32 v100, v102, v100
	v_fmamk_f32 v102, v176, 0xbf3f9e67, v119
	v_mul_f32_e32 v215, 0xbf52af12, v113
	v_mul_f32_e32 v186, 0xbf6f5d39, v232
	v_fmamk_f32 v103, v98, 0xbeb58ec6, v184
	v_mul_f32_e32 v183, 0xbe750f2a, v111
	v_add_f32_e32 v101, v102, v101
	v_fma_f32 v102, 0xbf3f9e67, v177, -v172
	v_fma_f32 v104, 0xbeb58ec6, v114, -v186
	v_mul_f32_e32 v188, 0xbe750f2a, v233
	v_mul_f32_e32 v180, 0x3f29c268, v234
	;; [unrolled: 1-line block ×3, first 2 shown]
	v_add_f32_e32 v102, v102, v100
	v_fmamk_f32 v100, v178, 0xbf788fa5, v161
	v_mul_f32_e32 v182, 0x3eedf032, v238
	v_mul_f32_e32 v226, 0xbf7e222b, v112
	;; [unrolled: 1-line block ×4, first 2 shown]
	v_add_f32_e32 v100, v100, v101
	v_fma_f32 v101, 0xbf788fa5, v179, -v174
	v_mul_f32_e32 v196, 0x3f6f5d39, v111
	v_fmamk_f32 v105, v98, 0xbf788fa5, v195
	v_fma_f32 v106, 0xbf788fa5, v114, -v199
	v_mul_f32_e32 v200, 0x3f6f5d39, v233
	v_add_f32_e32 v101, v101, v102
	v_fmamk_f32 v102, v191, 0x3f116cb1, v207
	v_mul_f32_e32 v197, 0x3eedf032, v234
	v_mul_f32_e32 v228, 0xbf6f5d39, v112
	;; [unrolled: 1-line block ×4, first 2 shown]
	v_add_f32_e32 v102, v92, v102
	v_mul_f32_e32 v210, 0x3f29c268, v232
	v_mul_f32_e32 v205, 0x3eedf032, v111
	v_fmamk_f32 v107, v98, 0xbf3f9e67, v204
	v_mul_f32_e32 v212, 0x3eedf032, v233
	v_add_f32_e32 v102, v103, v102
	v_fma_f32 v103, 0x3f116cb1, v193, -v215
	v_fma_f32 v108, 0xbf3f9e67, v114, -v210
	v_mul_f32_e32 v206, 0xbf7e222b, v234
	v_mul_f32_e32 v213, 0xbf7e222b, v235
	v_mul_f32_e32 v230, 0xbf29c268, v112
	v_add_f32_e32 v103, v93, v103
	v_mul_f32_e32 v216, 0x3f7e222b, v110
	v_mul_f32_e32 v231, 0xbf29c268, v113
	v_mul_f32_e32 v221, 0x3f7e222b, v232
	v_mul_f32_e32 v223, 0xbf52af12, v233
	v_add_f32_e32 v103, v104, v103
	v_fmamk_f32 v104, v117, 0xbf788fa5, v183
	v_fmamk_f32 v109, v98, 0x3df6dbef, v216
	v_fma_f32 v217, 0x3df6dbef, v114, -v221
	v_mul_f32_e32 v112, 0xbe750f2a, v112
	v_fmamk_f32 v244, v232, 0xbeedf032, v243
	v_add_f32_e32 v102, v104, v102
	v_fma_f32 v104, 0xbf788fa5, v162, -v188
	v_mul_f32_e32 v245, 0xbf3f9e67, v162
	v_fmac_f32_e32 v243, 0x3eedf032, v232
	v_add_f32_e32 v103, v104, v103
	v_fmamk_f32 v104, v173, 0xbf3f9e67, v180
	v_add_f32_e32 v102, v104, v102
	v_fma_f32 v104, 0xbf3f9e67, v175, -v189
	v_add_f32_e32 v103, v104, v103
	v_fmamk_f32 v104, v176, 0x3df6dbef, v181
	v_add_f32_e32 v102, v104, v102
	v_fma_f32 v104, 0x3df6dbef, v177, -v190
	;; [unrolled: 4-line block ×3, first 2 shown]
	v_add_f32_e32 v103, v104, v103
	v_fmamk_f32 v104, v191, 0x3df6dbef, v226
	v_add_f32_e32 v104, v92, v104
	v_add_f32_e32 v104, v105, v104
	v_fma_f32 v105, 0x3df6dbef, v193, -v227
	v_add_f32_e32 v105, v93, v105
	v_add_f32_e32 v105, v106, v105
	v_fmamk_f32 v106, v117, 0xbeb58ec6, v196
	v_add_f32_e32 v104, v106, v104
	v_fma_f32 v106, 0xbeb58ec6, v162, -v200
	v_add_f32_e32 v105, v106, v105
	v_fmamk_f32 v106, v173, 0x3f62ad3f, v197
	v_add_f32_e32 v104, v106, v104
	v_fma_f32 v106, 0x3f62ad3f, v175, -v201
	;; [unrolled: 4-line block ×4, first 2 shown]
	v_add_f32_e32 v105, v106, v105
	v_fmamk_f32 v106, v191, 0xbeb58ec6, v228
	v_add_f32_e32 v106, v92, v106
	v_add_f32_e32 v106, v107, v106
	v_fma_f32 v107, 0xbeb58ec6, v193, -v229
	v_add_f32_e32 v107, v93, v107
	v_add_f32_e32 v107, v108, v107
	v_fmamk_f32 v108, v117, 0x3f62ad3f, v205
	v_add_f32_e32 v106, v108, v106
	v_fma_f32 v108, 0x3f62ad3f, v162, -v212
	v_add_f32_e32 v107, v108, v107
	v_fmamk_f32 v108, v173, 0x3df6dbef, v206
	v_add_f32_e32 v106, v108, v106
	v_fma_f32 v108, 0x3df6dbef, v175, -v213
	;; [unrolled: 4-line block ×4, first 2 shown]
	v_add_f32_e32 v107, v108, v107
	v_fmamk_f32 v108, v191, 0xbf3f9e67, v230
	v_add_f32_e32 v108, v92, v108
	v_add_f32_e32 v108, v109, v108
	v_fma_f32 v109, 0xbf3f9e67, v193, -v231
	v_add_f32_e32 v109, v93, v109
	v_add_f32_e32 v109, v217, v109
	v_mul_f32_e32 v217, 0xbf52af12, v111
	v_fmamk_f32 v218, v117, 0x3f116cb1, v217
	v_add_f32_e32 v108, v218, v108
	v_fma_f32 v218, 0x3f116cb1, v162, -v223
	v_add_f32_e32 v109, v218, v109
	v_mul_f32_e32 v218, 0x3e750f2a, v234
	v_mul_f32_e32 v234, 0x3f52af12, v234
	v_fmamk_f32 v219, v173, 0xbf788fa5, v218
	v_add_f32_e32 v108, v219, v108
	v_fma_f32 v219, 0xbf788fa5, v175, -v225
	v_add_f32_e32 v109, v219, v109
	v_mul_f32_e32 v219, 0x3eedf032, v236
	;; [unrolled: 6-line block ×3, first 2 shown]
	v_mul_f32_e32 v238, 0x3f7e222b, v238
	v_fmamk_f32 v222, v178, 0xbeb58ec6, v220
	v_add_f32_e32 v108, v222, v108
	v_mul_f32_e32 v222, 0xbf6f5d39, v239
	v_fma_f32 v240, 0xbeb58ec6, v179, -v222
	v_add_f32_e32 v109, v240, v109
	v_mul_f32_e32 v240, 0x3eedf032, v110
	v_fmamk_f32 v110, v191, 0xbf788fa5, v112
	v_fma_f32 v112, 0xbf788fa5, v191, -v112
	v_fmamk_f32 v241, v98, 0x3f62ad3f, v240
	v_add_f32_e32 v110, v92, v110
	v_add_f32_e32 v112, v92, v112
	;; [unrolled: 1-line block ×3, first 2 shown]
	v_mul_f32_e32 v241, 0xbf788fa5, v193
	v_fmamk_f32 v242, v113, 0x3e750f2a, v241
	v_fmac_f32_e32 v241, 0xbe750f2a, v113
	v_fma_f32 v113, 0x3f62ad3f, v98, -v240
	v_add_f32_e32 v242, v93, v242
	v_add_f32_e32 v112, v113, v112
	;; [unrolled: 1-line block ×4, first 2 shown]
	v_mul_f32_e32 v244, 0xbf29c268, v111
	v_add_f32_e32 v113, v243, v113
	v_fmamk_f32 v111, v117, 0xbf3f9e67, v244
	v_fma_f32 v232, 0xbf3f9e67, v117, -v244
	v_add_f32_e32 v110, v111, v110
	v_fmamk_f32 v111, v233, 0x3f29c268, v245
	v_fmac_f32_e32 v245, 0xbf29c268, v233
	v_add_f32_e32 v112, v232, v112
	v_fma_f32 v232, 0x3f116cb1, v173, -v234
	v_add_f32_e32 v111, v111, v242
	v_fmamk_f32 v242, v173, 0x3f116cb1, v234
	v_add_f32_e32 v113, v245, v113
	v_add_f32_e32 v112, v232, v112
	v_fma_f32 v232, 0xbeb58ec6, v176, -v236
	v_add_f32_e32 v110, v242, v110
	v_mul_f32_e32 v242, 0x3f116cb1, v175
	v_add_f32_e32 v112, v232, v112
	v_fma_f32 v232, 0x3df6dbef, v178, -v238
	v_fmamk_f32 v246, v235, 0xbf52af12, v242
	v_fmac_f32_e32 v242, 0x3f52af12, v235
	v_add_f32_e32 v112, v232, v112
	v_add_f32_e32 v111, v246, v111
	v_fmamk_f32 v246, v176, 0xbeb58ec6, v236
	v_add_f32_e32 v113, v242, v113
	v_add_f32_e32 v110, v246, v110
	v_mul_f32_e32 v246, 0xbeb58ec6, v177
	v_fmamk_f32 v247, v237, 0x3f6f5d39, v246
	v_fmac_f32_e32 v246, 0xbf6f5d39, v237
	v_add_f32_e32 v111, v247, v111
	v_fmamk_f32 v247, v178, 0x3df6dbef, v238
	v_add_f32_e32 v113, v246, v113
	v_add_f32_e32 v110, v247, v110
	v_mul_f32_e32 v247, 0x3df6dbef, v179
	v_fmamk_f32 v248, v239, 0xbf7e222b, v247
	v_fmac_f32_e32 v247, 0x3f7e222b, v239
	v_add_f32_e32 v111, v248, v111
	v_add_f32_e32 v113, v247, v113
	s_and_saveexec_b32 s1, vcc_lo
	s_cbranch_execz .LBB0_17
; %bb.16:
	v_add_f32_e32 v94, v94, v92
	v_add_f32_e32 v95, v95, v93
	;; [unrolled: 1-line block ×4, first 2 shown]
	v_mul_f32_e32 v94, 0xbf3f9e67, v177
	v_mul_f32_e32 v95, 0x3df6dbef, v176
	v_add_f32_e32 v84, v86, v84
	v_add_f32_e32 v85, v87, v85
	v_mul_f32_e32 v87, 0xbf3f9e67, v175
	v_add_f32_e32 v84, v88, v84
	v_add_f32_e32 v85, v89, v85
	;; [unrolled: 1-line block ×3, first 2 shown]
	v_mul_f32_e32 v88, 0x3df6dbef, v177
	v_mul_f32_e32 v89, 0x3df6dbef, v162
	v_add_f32_e32 v84, v90, v84
	v_add_f32_e32 v85, v91, v85
	v_mul_f32_e32 v90, 0xbf788fa5, v117
	v_mul_f32_e32 v91, 0xbeb58ec6, v175
	v_add_f32_e32 v89, v116, v89
	v_add_f32_e32 v80, v80, v84
	;; [unrolled: 1-line block ×3, first 2 shown]
	v_mul_f32_e32 v84, 0x3df6dbef, v114
	v_mul_f32_e32 v85, 0x3df6dbef, v98
	v_sub_f32_e32 v90, v90, v183
	v_add_f32_e32 v80, v82, v80
	v_add_f32_e32 v81, v83, v81
	;; [unrolled: 1-line block ×3, first 2 shown]
	v_sub_f32_e32 v85, v85, v216
	v_mul_f32_e32 v82, 0x3f62ad3f, v193
	v_add_f32_e32 v52, v52, v80
	v_add_f32_e32 v53, v53, v81
	v_mul_f32_e32 v80, 0x3f116cb1, v193
	v_mul_f32_e32 v81, 0x3f116cb1, v191
	;; [unrolled: 1-line block ×3, first 2 shown]
	v_add_f32_e32 v52, v54, v52
	v_add_f32_e32 v53, v55, v53
	v_mul_f32_e32 v55, 0x3df6dbef, v191
	v_mul_f32_e32 v54, 0x3df6dbef, v193
	v_add_f32_e32 v80, v215, v80
	v_add_f32_e32 v44, v44, v52
	;; [unrolled: 1-line block ×3, first 2 shown]
	v_mul_f32_e32 v52, 0xbeb58ec6, v193
	v_mul_f32_e32 v53, 0xbeb58ec6, v191
	v_sub_f32_e32 v55, v55, v226
	v_add_f32_e32 v44, v46, v44
	v_mul_f32_e32 v46, 0xbf3f9e67, v193
	v_add_f32_e32 v45, v47, v45
	v_mul_f32_e32 v47, 0xbf3f9e67, v191
	v_add_f32_e32 v52, v229, v52
	v_sub_f32_e32 v53, v53, v228
	v_add_f32_e32 v46, v231, v46
	v_add_f32_e32 v55, v92, v55
	v_sub_f32_e32 v47, v47, v230
	v_add_f32_e32 v52, v93, v52
	v_add_f32_e32 v53, v92, v53
	;; [unrolled: 1-line block ×6, first 2 shown]
	v_sub_f32_e32 v81, v81, v207
	v_add_f32_e32 v46, v84, v46
	v_mul_f32_e32 v84, 0x3f116cb1, v162
	v_add_f32_e32 v47, v85, v47
	v_mul_f32_e32 v85, 0x3f62ad3f, v177
	v_add_f32_e32 v54, v93, v54
	v_add_f32_e32 v82, v192, v82
	;; [unrolled: 1-line block ×3, first 2 shown]
	v_sub_f32_e32 v83, v83, v187
	v_add_f32_e32 v85, v224, v85
	v_add_f32_e32 v81, v92, v81
	;; [unrolled: 1-line block ×4, first 2 shown]
	v_mul_f32_e32 v84, 0xbf788fa5, v175
	v_add_f32_e32 v83, v92, v83
	v_mul_f32_e32 v92, 0xbf3f9e67, v173
	v_mul_f32_e32 v93, 0xbf3f9e67, v176
	v_add_f32_e32 v45, v160, v45
	v_add_f32_e32 v84, v225, v84
	v_add_f32_e32 v44, v159, v44
	v_add_f32_e32 v46, v84, v46
	v_mul_f32_e32 v84, 0x3f116cb1, v117
	v_add_f32_e32 v46, v85, v46
	v_sub_f32_e32 v84, v84, v217
	v_mul_f32_e32 v85, 0xbeb58ec6, v179
	v_add_f32_e32 v47, v84, v47
	v_mul_f32_e32 v84, 0xbf788fa5, v173
	v_add_f32_e32 v85, v222, v85
	v_sub_f32_e32 v84, v84, v218
	v_add_f32_e32 v47, v84, v47
	v_mul_f32_e32 v84, 0x3f62ad3f, v176
	v_sub_f32_e32 v84, v84, v219
	v_add_f32_e32 v84, v84, v47
	v_mul_f32_e32 v47, 0xbeb58ec6, v178
	;; [unrolled: 3-line block ×3, first 2 shown]
	v_add_f32_e32 v46, v86, v84
	v_mul_f32_e32 v84, 0xbf3f9e67, v114
	v_sub_f32_e32 v85, v85, v204
	v_add_f32_e32 v84, v210, v84
	v_add_f32_e32 v53, v85, v53
	v_mul_f32_e32 v85, 0x3f62ad3f, v117
	v_add_f32_e32 v52, v84, v52
	v_mul_f32_e32 v84, 0x3f62ad3f, v162
	v_sub_f32_e32 v85, v85, v205
	v_add_f32_e32 v84, v212, v84
	v_add_f32_e32 v53, v85, v53
	v_mul_f32_e32 v85, 0x3df6dbef, v173
	;; [unrolled: 6-line block ×3, first 2 shown]
	v_add_f32_e32 v52, v84, v52
	v_mul_f32_e32 v84, 0xbf788fa5, v177
	v_add_f32_e32 v85, v211, v85
	v_add_f32_e32 v84, v214, v84
	;; [unrolled: 1-line block ×3, first 2 shown]
	v_mul_f32_e32 v84, 0xbf788fa5, v176
	v_sub_f32_e32 v84, v84, v208
	v_add_f32_e32 v84, v84, v53
	v_mul_f32_e32 v53, 0x3f116cb1, v178
	v_sub_f32_e32 v86, v53, v209
	v_add_f32_e32 v53, v85, v52
	v_mul_f32_e32 v85, 0xbf788fa5, v98
	v_add_f32_e32 v52, v86, v84
	v_mul_f32_e32 v84, 0xbf788fa5, v114
	v_sub_f32_e32 v85, v85, v195
	v_mul_f32_e32 v86, 0xbf3f9e67, v178
	v_add_f32_e32 v84, v199, v84
	v_add_f32_e32 v55, v85, v55
	v_mul_f32_e32 v85, 0xbeb58ec6, v117
	v_sub_f32_e32 v86, v86, v194
	v_add_f32_e32 v54, v84, v54
	v_mul_f32_e32 v84, 0xbeb58ec6, v162
	v_sub_f32_e32 v85, v85, v196
	v_add_f32_e32 v84, v200, v84
	v_add_f32_e32 v55, v85, v55
	v_mul_f32_e32 v85, 0x3f62ad3f, v173
	v_add_f32_e32 v54, v84, v54
	v_mul_f32_e32 v84, 0x3f62ad3f, v175
	v_sub_f32_e32 v85, v85, v197
	v_add_f32_e32 v84, v201, v84
	v_add_f32_e32 v55, v85, v55
	v_mul_f32_e32 v85, 0x3f116cb1, v176
	v_add_f32_e32 v54, v84, v54
	v_mul_f32_e32 v84, 0x3f116cb1, v177
	v_sub_f32_e32 v85, v85, v198
	v_add_f32_e32 v84, v202, v84
	v_add_f32_e32 v85, v85, v55
	v_mul_f32_e32 v55, 0xbeb58ec6, v114
	v_add_f32_e32 v54, v84, v54
	v_mul_f32_e32 v84, 0xbf3f9e67, v179
	v_add_f32_e32 v55, v186, v55
	v_add_f32_e32 v84, v203, v84
	;; [unrolled: 1-line block ×3, first 2 shown]
	v_mul_f32_e32 v80, 0xbf788fa5, v162
	v_add_f32_e32 v80, v188, v80
	v_add_f32_e32 v80, v80, v55
	;; [unrolled: 1-line block ×5, first 2 shown]
	v_mul_f32_e32 v85, 0x3f62ad3f, v179
	v_add_f32_e32 v80, v87, v80
	v_mul_f32_e32 v86, 0xbeb58ec6, v98
	v_mul_f32_e32 v87, 0x3f116cb1, v114
	;; [unrolled: 1-line block ×3, first 2 shown]
	v_add_f32_e32 v80, v84, v80
	v_add_f32_e32 v84, v185, v85
	v_sub_f32_e32 v85, v86, v184
	v_add_f32_e32 v86, v97, v87
	v_sub_f32_e32 v87, v88, v96
	v_mul_f32_e32 v88, 0x3df6dbef, v117
	v_mul_f32_e32 v96, 0xbf788fa5, v179
	v_add_f32_e32 v81, v85, v81
	v_mul_f32_e32 v85, 0xbeb58ec6, v173
	v_add_f32_e32 v82, v86, v82
	v_add_f32_e32 v83, v87, v83
	v_sub_f32_e32 v87, v88, v99
	v_add_f32_e32 v81, v90, v81
	v_sub_f32_e32 v88, v92, v180
	v_add_f32_e32 v82, v89, v82
	v_add_f32_e32 v89, v118, v91
	v_add_f32_e32 v83, v87, v83
	v_sub_f32_e32 v85, v85, v115
	v_mul_f32_e32 v86, 0xbf788fa5, v178
	v_mul_f32_e32 v97, 0x3f62ad3f, v178
	v_add_f32_e32 v81, v88, v81
	v_sub_f32_e32 v87, v95, v181
	v_add_f32_e32 v82, v89, v82
	v_add_f32_e32 v88, v172, v94
	;; [unrolled: 1-line block ×3, first 2 shown]
	v_sub_f32_e32 v85, v93, v119
	v_add_f32_e32 v87, v87, v81
	v_sub_f32_e32 v89, v97, v182
	v_add_f32_e32 v82, v88, v82
	v_add_f32_e32 v88, v174, v96
	;; [unrolled: 1-line block ×3, first 2 shown]
	v_sub_f32_e32 v86, v86, v161
	v_lshl_add_u32 v90, v167, 3, v165
	v_add_f32_e32 v81, v84, v80
	v_add_f32_e32 v80, v89, v87
	;; [unrolled: 1-line block ×4, first 2 shown]
	ds_write2_b64 v90, v[44:45], v[100:101] offset1:1
	ds_write2_b64 v90, v[102:103], v[104:105] offset0:2 offset1:3
	ds_write2_b64 v90, v[106:107], v[108:109] offset0:4 offset1:5
	ds_write2_b64 v90, v[110:111], v[112:113] offset0:6 offset1:7
	ds_write2_b64 v90, v[46:47], v[52:53] offset0:8 offset1:9
	ds_write2_b64 v90, v[54:55], v[80:81] offset0:10 offset1:11
	ds_write_b64 v90, v[82:83] offset:96
.LBB0_17:
	s_or_b32 exec_lo, exec_lo, s1
	v_add_nc_u32_e32 v52, 0x800, v163
	v_add_nc_u32_e32 v114, 0x400, v163
	;; [unrolled: 1-line block ×6, first 2 shown]
	s_waitcnt lgkmcnt(0)
	s_barrier
	buffer_gl0_inv
	ds_read2_b64 v[44:47], v163 offset1:91
	ds_read2_b64 v[88:91], v114 offset0:67 offset1:158
	ds_read2_b64 v[96:99], v52 offset0:134 offset1:225
	;; [unrolled: 1-line block ×6, first 2 shown]
	s_and_saveexec_b32 s1, s0
	s_cbranch_execz .LBB0_19
; %bb.18:
	v_add_nc_u32_e32 v104, 0x1e00, v163
	ds_read2_b64 v[100:103], v115 offset0:60 offset1:255
	ds_read2_b64 v[114:117], v114 offset0:54 offset1:249
	;; [unrolled: 1-line block ×3, first 2 shown]
	ds_read_b64 v[112:113], v163 offset:10816
	s_waitcnt lgkmcnt(3)
	v_mov_b32_e32 v106, v102
	v_mov_b32_e32 v107, v103
	;; [unrolled: 1-line block ×4, first 2 shown]
	s_waitcnt lgkmcnt(2)
	v_mov_b32_e32 v102, v116
	v_mov_b32_e32 v103, v117
	;; [unrolled: 1-line block ×4, first 2 shown]
.LBB0_19:
	s_or_b32 exec_lo, exec_lo, s1
	s_waitcnt lgkmcnt(5)
	v_mul_f32_e32 v116, v33, v89
	s_waitcnt lgkmcnt(4)
	v_mul_f32_e32 v118, v35, v97
	v_mul_f32_e32 v35, v35, v96
	;; [unrolled: 1-line block ×3, first 2 shown]
	v_add_nc_u32_e32 v115, 0x5b0, v163
	v_fmac_f32_e32 v116, v32, v88
	v_fmac_f32_e32 v118, v34, v96
	v_fma_f32 v34, v34, v97, -v35
	s_waitcnt lgkmcnt(3)
	v_mul_f32_e32 v35, v29, v93
	v_mul_f32_e32 v29, v29, v92
	s_waitcnt lgkmcnt(2)
	v_mul_f32_e32 v88, v31, v85
	v_mul_f32_e32 v31, v31, v84
	v_fma_f32 v32, v32, v89, -v117
	v_fmac_f32_e32 v35, v28, v92
	v_fma_f32 v28, v28, v93, -v29
	v_fmac_f32_e32 v88, v30, v84
	v_fma_f32 v29, v30, v85, -v31
	s_waitcnt lgkmcnt(0)
	v_mul_f32_e32 v30, v27, v53
	v_mul_f32_e32 v89, v25, v81
	;; [unrolled: 1-line block ×5, first 2 shown]
	v_fmac_f32_e32 v30, v26, v52
	v_mul_f32_e32 v52, v17, v95
	v_mul_f32_e32 v17, v17, v94
	v_fmac_f32_e32 v89, v24, v80
	v_mul_f32_e32 v21, v21, v90
	v_fma_f32 v24, v24, v81, -v25
	v_fma_f32 v25, v26, v53, -v27
	v_mul_f32_e32 v53, v19, v87
	v_fmac_f32_e32 v52, v16, v94
	v_fma_f32 v81, v16, v95, -v17
	v_mul_f32_e32 v16, v19, v86
	v_mul_f32_e32 v84, v13, v83
	;; [unrolled: 1-line block ×3, first 2 shown]
	v_fmac_f32_e32 v31, v20, v90
	v_fma_f32 v26, v20, v91, -v21
	v_mul_f32_e32 v27, v23, v99
	v_mul_f32_e32 v20, v23, v98
	v_fmac_f32_e32 v53, v18, v86
	v_mul_f32_e32 v85, v15, v55
	v_mul_f32_e32 v15, v15, v54
	v_fma_f32 v86, v18, v87, -v16
	v_fmac_f32_e32 v84, v12, v82
	v_fma_f32 v82, v12, v83, -v13
	v_add_f32_e32 v12, v116, v30
	v_add_f32_e32 v13, v32, v25
	;; [unrolled: 1-line block ×4, first 2 shown]
	v_fmac_f32_e32 v27, v22, v98
	v_fma_f32 v80, v22, v99, -v20
	v_fmac_f32_e32 v85, v14, v54
	v_fma_f32 v54, v14, v55, -v15
	v_sub_f32_e32 v14, v116, v30
	v_sub_f32_e32 v15, v32, v25
	;; [unrolled: 1-line block ×4, first 2 shown]
	v_add_f32_e32 v20, v35, v88
	v_add_f32_e32 v21, v28, v29
	v_sub_f32_e32 v22, v88, v35
	v_sub_f32_e32 v23, v29, v28
	v_add_f32_e32 v24, v16, v12
	v_add_f32_e32 v25, v17, v13
	v_sub_f32_e32 v28, v16, v12
	v_sub_f32_e32 v29, v17, v13
	;; [unrolled: 1-line block ×6, first 2 shown]
	v_add_f32_e32 v12, v22, v18
	v_add_f32_e32 v13, v23, v19
	v_sub_f32_e32 v34, v22, v18
	v_sub_f32_e32 v35, v23, v19
	;; [unrolled: 1-line block ×3, first 2 shown]
	v_add_f32_e32 v20, v20, v24
	v_add_f32_e32 v21, v21, v25
	v_sub_f32_e32 v19, v19, v15
	v_sub_f32_e32 v22, v14, v22
	;; [unrolled: 1-line block ×3, first 2 shown]
	v_add_f32_e32 v14, v12, v14
	v_add_f32_e32 v15, v13, v15
	;; [unrolled: 1-line block ×4, first 2 shown]
	v_mul_f32_e32 v24, 0x3f4a47b2, v30
	v_mul_f32_e32 v25, 0x3f4a47b2, v32
	;; [unrolled: 1-line block ×8, first 2 shown]
	v_fmamk_f32 v20, v20, 0xbf955555, v12
	v_fmamk_f32 v21, v21, 0xbf955555, v13
	;; [unrolled: 1-line block ×4, first 2 shown]
	v_fma_f32 v30, 0x3f3bfb3b, v28, -v30
	v_fma_f32 v32, 0x3f3bfb3b, v29, -v32
	;; [unrolled: 1-line block ×4, first 2 shown]
	v_fmamk_f32 v28, v22, 0xbeae86e6, v34
	v_fmamk_f32 v29, v23, 0xbeae86e6, v35
	v_fma_f32 v34, 0xbf5ff5aa, v18, -v34
	v_fma_f32 v35, 0xbf5ff5aa, v19, -v35
	;; [unrolled: 1-line block ×4, first 2 shown]
	v_add_f32_e32 v45, v16, v20
	v_add_f32_e32 v55, v17, v21
	;; [unrolled: 1-line block ×6, first 2 shown]
	v_fmac_f32_e32 v28, 0xbee1c552, v14
	v_fmac_f32_e32 v29, 0xbee1c552, v15
	;; [unrolled: 1-line block ×6, first 2 shown]
	v_add_f32_e32 v14, v29, v45
	v_sub_f32_e32 v15, v55, v28
	v_add_f32_e32 v16, v22, v24
	v_sub_f32_e32 v17, v25, v44
	v_sub_f32_e32 v18, v23, v35
	v_add_f32_e32 v19, v34, v30
	v_add_f32_e32 v20, v35, v23
	v_sub_f32_e32 v21, v30, v34
	v_sub_f32_e32 v22, v24, v22
	v_add_f32_e32 v23, v44, v25
	v_sub_f32_e32 v24, v45, v29
	v_add_f32_e32 v25, v28, v55
	v_add_f32_e32 v28, v31, v85
	;; [unrolled: 1-line block ×3, first 2 shown]
	v_sub_f32_e32 v30, v31, v85
	v_add_f32_e32 v31, v27, v84
	v_add_f32_e32 v32, v80, v82
	v_sub_f32_e32 v26, v26, v54
	v_sub_f32_e32 v27, v27, v84
	;; [unrolled: 1-line block ×3, first 2 shown]
	v_add_f32_e32 v35, v52, v53
	v_add_f32_e32 v44, v81, v86
	v_sub_f32_e32 v45, v53, v52
	v_sub_f32_e32 v52, v86, v81
	v_add_f32_e32 v53, v31, v28
	v_add_f32_e32 v54, v32, v29
	v_sub_f32_e32 v55, v31, v28
	v_sub_f32_e32 v80, v32, v29
	;; [unrolled: 1-line block ×6, first 2 shown]
	v_add_f32_e32 v81, v45, v27
	v_add_f32_e32 v82, v52, v34
	v_sub_f32_e32 v83, v45, v27
	v_sub_f32_e32 v84, v52, v34
	v_add_f32_e32 v35, v35, v53
	v_add_f32_e32 v44, v44, v54
	v_sub_f32_e32 v85, v27, v30
	v_sub_f32_e32 v34, v34, v26
	;; [unrolled: 1-line block ×4, first 2 shown]
	v_add_f32_e32 v30, v81, v30
	v_add_f32_e32 v53, v82, v26
	;; [unrolled: 1-line block ×4, first 2 shown]
	v_mul_f32_e32 v28, 0x3f4a47b2, v28
	v_mul_f32_e32 v29, 0x3f4a47b2, v29
	;; [unrolled: 1-line block ×8, first 2 shown]
	v_fmamk_f32 v35, v35, 0xbf955555, v26
	v_fmamk_f32 v44, v44, 0xbf955555, v27
	;; [unrolled: 1-line block ×4, first 2 shown]
	v_fma_f32 v46, 0x3f3bfb3b, v55, -v46
	v_fma_f32 v47, 0x3f3bfb3b, v80, -v47
	;; [unrolled: 1-line block ×4, first 2 shown]
	v_fmamk_f32 v55, v45, 0xbeae86e6, v54
	v_fmamk_f32 v80, v52, 0xbeae86e6, v81
	v_fma_f32 v54, 0xbf5ff5aa, v85, -v54
	v_fma_f32 v81, 0xbf5ff5aa, v34, -v81
	;; [unrolled: 1-line block ×4, first 2 shown]
	v_add_f32_e32 v83, v31, v35
	v_add_f32_e32 v32, v32, v44
	v_fmac_f32_e32 v55, 0xbee1c552, v30
	v_fmac_f32_e32 v80, 0xbee1c552, v53
	v_add_nc_u32_e32 v114, 0x888, v163
	v_add_nc_u32_e32 v33, 0xb60, v163
	v_add_f32_e32 v45, v46, v35
	v_add_f32_e32 v46, v47, v44
	;; [unrolled: 1-line block ×4, first 2 shown]
	v_fmac_f32_e32 v54, 0xbee1c552, v30
	v_fmac_f32_e32 v52, 0xbee1c552, v53
	;; [unrolled: 1-line block ×4, first 2 shown]
	v_add_f32_e32 v28, v80, v83
	v_sub_f32_e32 v29, v32, v55
	v_add_f32_e32 v30, v52, v47
	v_sub_f32_e32 v31, v84, v82
	v_sub_f32_e32 v34, v45, v81
	v_add_f32_e32 v35, v54, v46
	v_add_f32_e32 v44, v81, v45
	v_sub_f32_e32 v45, v46, v54
	v_sub_f32_e32 v46, v47, v52
	v_add_f32_e32 v47, v82, v84
	v_sub_f32_e32 v52, v83, v80
	v_add_f32_e32 v53, v55, v32
	s_barrier
	buffer_gl0_inv
	ds_write2_b64 v170, v[12:13], v[14:15] offset1:13
	ds_write2_b64 v170, v[16:17], v[18:19] offset0:26 offset1:39
	ds_write2_b64 v170, v[20:21], v[22:23] offset0:52 offset1:65
	ds_write_b64 v170, v[24:25] offset:624
	ds_write2_b64 v169, v[26:27], v[28:29] offset1:13
	ds_write2_b64 v169, v[30:31], v[34:35] offset0:26 offset1:39
	ds_write2_b64 v169, v[44:45], v[46:47] offset0:52 offset1:65
	ds_write_b64 v169, v[52:53] offset:624
	s_and_saveexec_b32 s1, s0
	s_cbranch_execz .LBB0_21
; %bb.20:
	v_mul_f32_e32 v12, v5, v103
	v_mul_f32_e32 v15, v7, v105
	v_mul_f32_e32 v16, v9, v111
	v_mul_f32_e32 v17, v11, v113
	v_mul_f32_e32 v11, v11, v112
	v_mul_f32_e32 v5, v5, v102
	v_mul_f32_e32 v9, v9, v110
	v_mul_f32_e32 v7, v7, v104
	v_mul_f32_e32 v13, v3, v109
	v_mul_f32_e32 v14, v1, v107
	v_fmac_f32_e32 v15, v6, v104
	v_fmac_f32_e32 v12, v4, v102
	;; [unrolled: 1-line block ×3, first 2 shown]
	v_fma_f32 v10, v10, v113, -v11
	v_fma_f32 v4, v4, v103, -v5
	v_mul_f32_e32 v1, v1, v106
	v_mul_f32_e32 v3, v3, v108
	v_fma_f32 v5, v8, v111, -v9
	v_fma_f32 v6, v6, v105, -v7
	v_fmac_f32_e32 v13, v2, v108
	v_fmac_f32_e32 v14, v0, v106
	;; [unrolled: 1-line block ×3, first 2 shown]
	v_add_f32_e32 v8, v10, v4
	v_fma_f32 v0, v0, v107, -v1
	v_fma_f32 v2, v2, v109, -v3
	v_add_f32_e32 v9, v5, v6
	v_sub_f32_e32 v19, v15, v16
	v_sub_f32_e32 v20, v12, v17
	v_add_f32_e32 v12, v17, v12
	v_add_f32_e32 v1, v2, v0
	;; [unrolled: 1-line block ×4, first 2 shown]
	v_sub_f32_e32 v18, v13, v14
	v_add_f32_e32 v13, v13, v14
	v_sub_f32_e32 v22, v8, v1
	v_add_f32_e32 v3, v1, v3
	;; [unrolled: 2-line block ×3, first 2 shown]
	v_sub_f32_e32 v2, v2, v0
	v_sub_f32_e32 v5, v6, v5
	v_add_f32_e32 v1, v101, v3
	v_sub_f32_e32 v4, v4, v10
	v_mul_f32_e32 v17, 0x3f4a47b2, v22
	v_sub_f32_e32 v23, v12, v13
	v_sub_f32_e32 v21, v18, v19
	v_fmamk_f32 v24, v3, 0xbf955555, v1
	v_add_f32_e32 v3, v13, v14
	v_sub_f32_e32 v10, v2, v5
	v_sub_f32_e32 v25, v4, v2
	v_add_f32_e32 v2, v2, v5
	v_sub_f32_e32 v5, v5, v4
	v_add_f32_e32 v7, v18, v19
	v_mul_f32_e32 v22, 0x3d64c772, v16
	v_fmamk_f32 v16, v16, 0x3d64c772, v17
	v_mul_f32_e32 v6, 0x3f4a47b2, v23
	v_sub_f32_e32 v13, v13, v15
	v_sub_f32_e32 v19, v19, v20
	;; [unrolled: 1-line block ×4, first 2 shown]
	v_mul_f32_e32 v21, 0x3f08b237, v21
	v_add_f32_e32 v0, v100, v3
	v_mul_f32_e32 v10, 0x3f08b237, v10
	v_sub_f32_e32 v9, v15, v12
	v_mul_f32_e32 v12, 0xbf5ff5aa, v5
	v_add_f32_e32 v14, v16, v24
	v_fmamk_f32 v16, v13, 0x3d64c772, v6
	v_mul_f32_e32 v13, 0x3d64c772, v13
	v_mul_f32_e32 v26, 0xbf5ff5aa, v19
	v_add_f32_e32 v2, v2, v4
	v_fma_f32 v4, 0xbf3bfb3b, v8, -v17
	v_fmamk_f32 v18, v11, 0xbeae86e6, v21
	v_add_f32_e32 v7, v7, v20
	v_fmamk_f32 v23, v3, 0xbf955555, v0
	v_fmamk_f32 v20, v25, 0xbeae86e6, v10
	v_fma_f32 v6, 0xbf3bfb3b, v9, -v6
	v_fma_f32 v12, 0x3eae86e6, v25, -v12
	;; [unrolled: 1-line block ×3, first 2 shown]
	v_add_f32_e32 v15, v4, v24
	v_fma_f32 v4, 0x3f3bfb3b, v8, -v22
	v_fma_f32 v8, 0xbf5ff5aa, v19, -v21
	v_fma_f32 v17, 0xbf5ff5aa, v5, -v10
	v_fma_f32 v5, 0x3f3bfb3b, v9, -v13
	v_fmac_f32_e32 v18, 0xbee1c552, v7
	v_add_f32_e32 v16, v16, v23
	v_fmac_f32_e32 v20, 0xbee1c552, v2
	v_add_f32_e32 v6, v6, v23
	v_fmac_f32_e32 v12, 0xbee1c552, v2
	v_lshl_add_u32 v19, v168, 3, v165
	v_fmac_f32_e32 v11, 0xbee1c552, v7
	v_add_f32_e32 v9, v4, v24
	v_fmac_f32_e32 v8, 0xbee1c552, v7
	v_fmac_f32_e32 v17, 0xbee1c552, v2
	v_add_f32_e32 v2, v5, v23
	v_add_f32_e32 v3, v18, v14
	v_sub_f32_e32 v4, v6, v12
	v_add_f32_e32 v10, v12, v6
	v_sub_f32_e32 v13, v14, v18
	v_add_f32_e32 v12, v20, v16
	v_add_nc_u32_e32 v14, 0x2400, v19
	v_add_f32_e32 v5, v11, v15
	v_sub_f32_e32 v7, v9, v8
	v_add_f32_e32 v9, v8, v9
	v_sub_f32_e32 v8, v2, v17
	v_sub_f32_e32 v11, v15, v11
	v_add_nc_u32_e32 v15, 0x2800, v19
	v_add_f32_e32 v6, v17, v2
	v_sub_f32_e32 v2, v16, v20
	ds_write2_b64 v14, v[0:1], v[12:13] offset0:122 offset1:135
	ds_write2_b64 v15, v[10:11], v[8:9] offset0:20 offset1:33
	;; [unrolled: 1-line block ×3, first 2 shown]
	ds_write_b64 v19, v[2:3] offset:10816
.LBB0_21:
	s_or_b32 exec_lo, exec_lo, s1
	v_add_nc_u32_e32 v6, 0x400, v163
	s_waitcnt lgkmcnt(0)
	s_barrier
	v_add_nc_u32_e32 v4, 0x1000, v163
	buffer_gl0_inv
	v_add_nc_u32_e32 v0, 0x1400, v163
	ds_read2_b64 v[7:10], v6 offset0:54 offset1:145
	v_add_nc_u32_e32 v2, 0x2000, v163
	v_add_nc_u32_e32 v5, 0x800, v163
	ds_read2_b64 v[11:14], v4 offset0:34 offset1:125
	ds_read2_b64 v[15:18], v0 offset0:88 offset1:179
	;; [unrolled: 1-line block ×4, first 2 shown]
	v_add_nc_u32_e32 v3, 0x1800, v163
	ds_read2_b64 v[27:30], v163 offset1:91
	ds_read_b64 v[31:32], v163 offset:10192
	ds_read2_b64 v[44:47], v3 offset0:142 offset1:233
	s_waitcnt lgkmcnt(0)
	s_barrier
	buffer_gl0_inv
	s_mov_b32 s4, 0x18018018
	s_mov_b32 s5, 0x3f480180
	s_mul_hi_u32 s1, s8, 0x69
	v_mul_f32_e32 v1, v49, v10
	v_mul_f32_e32 v34, v49, v9
	;; [unrolled: 1-line block ×5, first 2 shown]
	v_fmac_f32_e32 v1, v48, v9
	v_mul_f32_e32 v9, v49, v23
	v_mul_f32_e32 v53, v37, v18
	;; [unrolled: 1-line block ×3, first 2 shown]
	v_fma_f32 v34, v48, v10, -v34
	v_fmac_f32_e32 v81, v48, v23
	v_fma_f32 v48, v48, v24, -v9
	v_mul_f32_e32 v24, v51, v14
	v_mul_f32_e32 v9, v51, v13
	;; [unrolled: 1-line block ×6, first 2 shown]
	v_fmac_f32_e32 v35, v50, v11
	v_fma_f32 v52, v50, v12, -v52
	v_fmac_f32_e32 v53, v36, v17
	v_fma_f32 v49, v36, v18, -v54
	v_mul_f32_e32 v37, v39, v22
	v_fmac_f32_e32 v24, v50, v13
	v_fma_f32 v50, v50, v14, -v9
	v_fmac_f32_e32 v51, v36, v44
	v_fma_f32 v36, v36, v45, -v10
	v_mul_f32_e32 v9, v39, v21
	v_mul_f32_e32 v39, v57, v26
	;; [unrolled: 1-line block ×4, first 2 shown]
	v_fmac_f32_e32 v55, v38, v19
	v_fma_f32 v19, v38, v20, -v80
	v_fmac_f32_e32 v37, v38, v21
	v_mul_f32_e32 v44, v59, v16
	v_fma_f32 v38, v38, v22, -v9
	v_fmac_f32_e32 v39, v56, v25
	v_fma_f32 v45, v56, v26, -v10
	v_fma_f32 v54, v58, v16, -v11
	v_add_f32_e32 v9, v35, v53
	v_mul_f32_e32 v56, v41, v47
	v_mul_f32_e32 v10, v41, v46
	v_add_f32_e32 v11, v27, v1
	v_fmac_f32_e32 v44, v58, v15
	v_fma_f32 v9, -0.5, v9, v27
	v_sub_f32_e32 v12, v34, v19
	v_fmac_f32_e32 v56, v40, v46
	v_fma_f32 v40, v40, v47, -v10
	v_add_f32_e32 v10, v11, v35
	v_sub_f32_e32 v13, v1, v35
	v_sub_f32_e32 v15, v55, v53
	v_add_f32_e32 v16, v1, v55
	v_mul_f32_e32 v41, v43, v32
	v_fmamk_f32 v11, v12, 0xbf737871, v9
	v_sub_f32_e32 v14, v52, v49
	v_mul_f32_e32 v17, v43, v31
	v_add_f32_e32 v10, v10, v53
	v_add_f32_e32 v18, v13, v15
	v_fma_f32 v13, -0.5, v16, v27
	v_fmac_f32_e32 v9, 0x3f737871, v12
	v_add_f32_e32 v20, v28, v34
	v_fmac_f32_e32 v41, v42, v31
	v_fmac_f32_e32 v11, 0xbf167918, v14
	v_fma_f32 v42, v42, v32, -v17
	v_add_f32_e32 v15, v10, v55
	v_fmamk_f32 v17, v14, 0x3f737871, v13
	v_sub_f32_e32 v10, v35, v1
	v_sub_f32_e32 v16, v53, v55
	v_fmac_f32_e32 v9, 0x3f167918, v14
	v_add_f32_e32 v21, v52, v49
	v_fmac_f32_e32 v13, 0xbf737871, v14
	v_add_f32_e32 v14, v20, v52
	;; [unrolled: 2-line block ×3, first 2 shown]
	v_fma_f32 v10, -0.5, v21, v28
	v_sub_f32_e32 v1, v1, v55
	v_fmac_f32_e32 v9, 0x3e9e377a, v18
	v_add_f32_e32 v18, v14, v49
	v_add_f32_e32 v14, v34, v19
	v_fmac_f32_e32 v17, 0xbf167918, v12
	v_fmac_f32_e32 v13, 0x3f167918, v12
	v_fmamk_f32 v12, v1, 0x3f737871, v10
	v_sub_f32_e32 v20, v35, v53
	v_sub_f32_e32 v21, v34, v52
	;; [unrolled: 1-line block ×3, first 2 shown]
	v_fma_f32 v14, -0.5, v14, v28
	v_fmac_f32_e32 v10, 0xbf737871, v1
	v_add_f32_e32 v25, v29, v81
	v_fmac_f32_e32 v17, 0x3e9e377a, v16
	v_fmac_f32_e32 v13, 0x3e9e377a, v16
	v_add_f32_e32 v16, v18, v19
	v_fmac_f32_e32 v12, 0x3f167918, v20
	v_add_f32_e32 v21, v21, v22
	v_fmamk_f32 v18, v20, 0xbf737871, v14
	v_sub_f32_e32 v22, v52, v34
	v_sub_f32_e32 v19, v49, v19
	v_add_f32_e32 v23, v24, v51
	v_fmac_f32_e32 v10, 0xbf167918, v20
	v_fmac_f32_e32 v14, 0x3f737871, v20
	v_add_f32_e32 v20, v25, v24
	v_add_f32_e32 v28, v81, v37
	v_fmac_f32_e32 v18, 0x3f167918, v1
	v_add_f32_e32 v22, v22, v19
	v_fma_f32 v19, -0.5, v23, v29
	v_sub_f32_e32 v26, v48, v38
	v_sub_f32_e32 v27, v50, v36
	;; [unrolled: 1-line block ×4, first 2 shown]
	v_fmac_f32_e32 v14, 0xbf167918, v1
	v_add_f32_e32 v1, v20, v51
	v_fma_f32 v29, -0.5, v28, v29
	v_fmac_f32_e32 v12, 0x3e9e377a, v21
	v_fmac_f32_e32 v10, 0x3e9e377a, v21
	v_fmac_f32_e32 v18, 0x3e9e377a, v22
	v_fmamk_f32 v21, v26, 0xbf737871, v19
	v_add_f32_e32 v31, v23, v25
	v_fmac_f32_e32 v14, 0x3e9e377a, v22
	v_add_f32_e32 v23, v1, v37
	v_fmac_f32_e32 v19, 0x3f737871, v26
	v_fmamk_f32 v25, v27, 0x3f737871, v29
	v_sub_f32_e32 v1, v24, v81
	v_sub_f32_e32 v20, v51, v37
	v_add_f32_e32 v22, v30, v48
	v_add_f32_e32 v28, v50, v36
	v_fmac_f32_e32 v29, 0xbf737871, v27
	v_fmac_f32_e32 v21, 0xbf167918, v27
	v_fmac_f32_e32 v19, 0x3f167918, v27
	v_fmac_f32_e32 v25, 0xbf167918, v26
	v_add_f32_e32 v1, v1, v20
	v_add_f32_e32 v22, v22, v50
	v_fma_f32 v20, -0.5, v28, v30
	v_sub_f32_e32 v28, v81, v37
	v_fmac_f32_e32 v29, 0x3f167918, v26
	v_add_f32_e32 v27, v48, v38
	v_sub_f32_e32 v32, v48, v50
	v_sub_f32_e32 v34, v38, v36
	v_fmac_f32_e32 v21, 0x3e9e377a, v31
	v_fmac_f32_e32 v19, 0x3e9e377a, v31
	;; [unrolled: 1-line block ×3, first 2 shown]
	v_add_f32_e32 v26, v22, v36
	v_fmamk_f32 v22, v28, 0x3f737871, v20
	v_sub_f32_e32 v31, v24, v51
	v_fmac_f32_e32 v29, 0x3e9e377a, v1
	v_fmac_f32_e32 v30, -0.5, v27
	v_add_f32_e32 v1, v32, v34
	v_fmac_f32_e32 v20, 0xbf737871, v28
	v_sub_f32_e32 v27, v50, v48
	v_sub_f32_e32 v32, v36, v38
	v_add_f32_e32 v34, v44, v56
	v_add_f32_e32 v24, v26, v38
	v_fmac_f32_e32 v22, 0x3f167918, v31
	v_fmamk_f32 v26, v31, 0xbf737871, v30
	v_fmac_f32_e32 v20, 0xbf167918, v31
	v_add_f32_e32 v32, v27, v32
	v_fmac_f32_e32 v30, 0x3f737871, v31
	v_add_f32_e32 v31, v7, v39
	v_fma_f32 v27, -0.5, v34, v7
	v_sub_f32_e32 v35, v45, v42
	v_fmac_f32_e32 v22, 0x3e9e377a, v1
	v_fmac_f32_e32 v26, 0x3f167918, v28
	;; [unrolled: 1-line block ×4, first 2 shown]
	v_add_f32_e32 v1, v31, v44
	v_fmamk_f32 v31, v35, 0xbf737871, v27
	v_sub_f32_e32 v28, v54, v40
	v_sub_f32_e32 v34, v39, v44
	;; [unrolled: 1-line block ×3, first 2 shown]
	v_fmac_f32_e32 v27, 0x3f737871, v35
	v_add_f32_e32 v37, v39, v41
	v_fmac_f32_e32 v31, 0xbf167918, v28
	v_add_f32_e32 v1, v1, v56
	v_add_f32_e32 v36, v34, v36
	v_fmac_f32_e32 v27, 0x3f167918, v28
	v_fma_f32 v7, -0.5, v37, v7
	v_add_f32_e32 v38, v8, v45
	v_add_f32_e32 v34, v1, v41
	v_fmac_f32_e32 v31, 0x3e9e377a, v36
	v_fmac_f32_e32 v27, 0x3e9e377a, v36
	v_fmamk_f32 v36, v28, 0x3f737871, v7
	v_fmac_f32_e32 v7, 0xbf737871, v28
	v_add_f32_e32 v1, v54, v40
	v_fmac_f32_e32 v26, 0x3e9e377a, v32
	v_fmac_f32_e32 v30, 0x3e9e377a, v32
	v_sub_f32_e32 v32, v44, v39
	v_sub_f32_e32 v37, v56, v41
	v_fmac_f32_e32 v36, 0xbf167918, v35
	v_fmac_f32_e32 v7, 0x3f167918, v35
	v_add_f32_e32 v35, v38, v54
	v_add_f32_e32 v38, v45, v42
	v_fma_f32 v28, -0.5, v1, v8
	v_sub_f32_e32 v1, v39, v41
	v_add_f32_e32 v37, v32, v37
	v_sub_f32_e32 v39, v44, v56
	v_fmac_f32_e32 v8, -0.5, v38
	v_sub_f32_e32 v38, v45, v54
	v_fmamk_f32 v32, v1, 0x3f737871, v28
	v_sub_f32_e32 v41, v42, v40
	v_fmac_f32_e32 v36, 0x3e9e377a, v37
	v_fmac_f32_e32 v7, 0x3e9e377a, v37
	v_add_f32_e32 v35, v35, v40
	v_fmac_f32_e32 v28, 0xbf737871, v1
	v_fmamk_f32 v37, v39, 0xbf737871, v8
	v_sub_f32_e32 v43, v54, v45
	v_sub_f32_e32 v40, v40, v42
	v_fmac_f32_e32 v8, 0x3f737871, v39
	v_fmac_f32_e32 v32, 0x3f167918, v39
	v_add_f32_e32 v38, v38, v41
	v_fmac_f32_e32 v28, 0xbf167918, v39
	v_fmac_f32_e32 v37, 0x3f167918, v1
	v_add_f32_e32 v39, v43, v40
	v_fmac_f32_e32 v8, 0xbf167918, v1
	v_add_f32_e32 v35, v35, v42
	v_fmac_f32_e32 v32, 0x3e9e377a, v38
	v_add_nc_u32_e32 v1, 0x1800, v171
	v_fmac_f32_e32 v28, 0x3e9e377a, v38
	v_fmac_f32_e32 v37, 0x3e9e377a, v39
	;; [unrolled: 1-line block ×3, first 2 shown]
	ds_write2_b64 v163, v[15:16], v[11:12] offset1:91
	ds_write2_b64 v6, v[17:18], v[13:14] offset0:54 offset1:145
	v_add_nc_u32_e32 v11, 0x2000, v171
	ds_write2_b64 v5, v[9:10], v[23:24] offset0:108 offset1:199
	ds_write2_b64 v4, v[21:22], v[25:26] offset0:34 offset1:125
	;; [unrolled: 1-line block ×5, first 2 shown]
	ds_write_b64 v171, v[27:28] offset:10192
	s_waitcnt lgkmcnt(0)
	s_barrier
	buffer_gl0_inv
	ds_read2_b64 v[7:10], v5 offset0:108 offset1:199
	ds_read2_b64 v[11:14], v3 offset0:142 offset1:233
	;; [unrolled: 1-line block ×3, first 2 shown]
	ds_read2_b64 v[19:22], v163 offset1:91
	ds_read2_b64 v[23:26], v6 offset0:54 offset1:145
	ds_read2_b64 v[27:30], v2 offset0:68 offset1:159
	;; [unrolled: 1-line block ×3, first 2 shown]
	ds_read_b64 v[0:1], v163 offset:10192
	s_waitcnt lgkmcnt(7)
	v_mul_f32_e32 v31, v77, v10
	v_mul_f32_e32 v32, v77, v9
	s_waitcnt lgkmcnt(6)
	v_mul_f32_e32 v38, v79, v12
	v_mul_f32_e32 v39, v75, v14
	s_waitcnt lgkmcnt(5)
	v_mul_f32_e32 v40, v69, v18
	v_fmac_f32_e32 v31, v76, v9
	v_mul_f32_e32 v9, v79, v11
	v_fma_f32 v10, v76, v10, -v32
	v_mul_f32_e32 v32, v73, v16
	v_fmac_f32_e32 v38, v78, v11
	v_mul_f32_e32 v11, v73, v15
	v_fma_f32 v12, v78, v12, -v9
	v_mul_f32_e32 v9, v75, v13
	v_fmac_f32_e32 v32, v72, v15
	s_waitcnt lgkmcnt(2)
	v_mul_f32_e32 v41, v71, v28
	v_fma_f32 v15, v72, v16, -v11
	v_mul_f32_e32 v11, v69, v17
	v_fma_f32 v14, v74, v14, -v9
	v_mul_f32_e32 v9, v71, v27
	s_waitcnt lgkmcnt(1)
	v_mul_f32_e32 v42, v65, v35
	v_fmac_f32_e32 v41, v70, v27
	v_fma_f32 v18, v68, v18, -v11
	v_mul_f32_e32 v11, v65, v34
	v_fma_f32 v27, v70, v28, -v9
	v_mul_f32_e32 v9, v67, v29
	v_mul_f32_e32 v28, v67, v30
	v_fmac_f32_e32 v42, v64, v34
	v_fma_f32 v34, v64, v35, -v11
	v_mul_f32_e32 v35, v61, v37
	v_mul_f32_e32 v11, v61, v36
	v_fma_f32 v30, v66, v30, -v9
	s_waitcnt lgkmcnt(0)
	v_mul_f32_e32 v9, v63, v0
	v_fmac_f32_e32 v39, v74, v13
	v_mul_f32_e32 v43, v63, v1
	v_fmac_f32_e32 v35, v60, v36
	v_fma_f32 v36, v60, v37, -v11
	v_add_f32_e32 v11, v31, v38
	v_add_f32_e32 v13, v19, v31
	v_fma_f32 v37, v62, v1, -v9
	v_add_f32_e32 v1, v10, v12
	v_fmac_f32_e32 v40, v68, v17
	v_fmac_f32_e32 v43, v62, v0
	v_fma_f32 v0, -0.5, v11, v19
	v_sub_f32_e32 v16, v10, v12
	v_add_f32_e32 v9, v13, v38
	v_add_f32_e32 v10, v20, v10
	v_fma_f32 v1, -0.5, v1, v20
	v_sub_f32_e32 v13, v31, v38
	v_add_f32_e32 v17, v21, v32
	v_fmamk_f32 v11, v16, 0xbf5db3d7, v0
	v_fmac_f32_e32 v0, 0x3f5db3d7, v16
	v_add_f32_e32 v10, v10, v12
	v_add_f32_e32 v16, v32, v39
	v_fmamk_f32 v12, v13, 0x3f5db3d7, v1
	v_fmac_f32_e32 v1, 0xbf5db3d7, v13
	v_add_f32_e32 v19, v15, v14
	v_add_f32_e32 v13, v17, v39
	;; [unrolled: 1-line block ×3, first 2 shown]
	v_fma_f32 v21, -0.5, v16, v21
	v_sub_f32_e32 v16, v15, v14
	v_fmac_f32_e32 v22, -0.5, v19
	v_sub_f32_e32 v19, v32, v39
	v_add_f32_e32 v14, v17, v14
	v_add_f32_e32 v17, v40, v41
	;; [unrolled: 1-line block ×3, first 2 shown]
	v_fmac_f32_e32 v28, v66, v29
	v_fmamk_f32 v15, v16, 0xbf5db3d7, v21
	v_fmac_f32_e32 v21, 0x3f5db3d7, v16
	v_fmamk_f32 v16, v19, 0x3f5db3d7, v22
	v_fmac_f32_e32 v22, 0xbf5db3d7, v19
	v_fma_f32 v17, -0.5, v17, v23
	v_sub_f32_e32 v31, v18, v27
	v_add_f32_e32 v19, v20, v41
	v_add_f32_e32 v20, v24, v18
	;; [unrolled: 1-line block ×4, first 2 shown]
	v_fmamk_f32 v23, v31, 0xbf5db3d7, v17
	v_fmac_f32_e32 v17, 0x3f5db3d7, v31
	v_add_f32_e32 v20, v20, v27
	v_add_f32_e32 v27, v42, v28
	;; [unrolled: 1-line block ×3, first 2 shown]
	v_fma_f32 v18, -0.5, v29, v24
	v_sub_f32_e32 v29, v40, v41
	v_sub_f32_e32 v32, v34, v30
	v_fma_f32 v25, -0.5, v27, v25
	v_add_f32_e32 v27, v31, v28
	v_add_f32_e32 v31, v26, v34
	v_fmamk_f32 v24, v29, 0x3f5db3d7, v18
	v_fmac_f32_e32 v18, 0xbf5db3d7, v29
	v_add_f32_e32 v29, v34, v30
	v_sub_f32_e32 v34, v42, v28
	v_add_f32_e32 v28, v31, v30
	v_add_f32_e32 v31, v7, v35
	v_fma_f32 v7, -0.5, v38, v7
	v_add_f32_e32 v38, v36, v37
	v_fmac_f32_e32 v26, -0.5, v29
	v_fmamk_f32 v29, v32, 0xbf5db3d7, v25
	v_fmac_f32_e32 v25, 0x3f5db3d7, v32
	v_sub_f32_e32 v32, v36, v37
	v_add_f32_e32 v36, v8, v36
	v_fmac_f32_e32 v8, -0.5, v38
	v_sub_f32_e32 v38, v35, v43
	v_fmamk_f32 v30, v34, 0x3f5db3d7, v26
	v_fmac_f32_e32 v26, 0xbf5db3d7, v34
	v_fmamk_f32 v34, v32, 0xbf5db3d7, v7
	v_fmac_f32_e32 v7, 0x3f5db3d7, v32
	v_add_f32_e32 v32, v36, v37
	v_add_nc_u32_e32 v36, 0xc00, v166
	v_add_nc_u32_e32 v37, 0x1800, v166
	v_fmamk_f32 v35, v38, 0x3f5db3d7, v8
	v_fmac_f32_e32 v8, 0xbf5db3d7, v38
	v_add_f32_e32 v31, v31, v43
	ds_write_b64 v163, v[9:10]
	ds_write2_b64 v36, v[11:12], v[15:16] offset0:71 offset1:162
	ds_write2_b64 v37, v[0:1], v[21:22] offset0:142 offset1:233
	;; [unrolled: 1-line block ×3, first 2 shown]
	ds_write_b64 v115, v[23:24] offset:3640
	ds_write_b64 v115, v[17:18] offset:7280
	;; [unrolled: 1-line block ×8, first 2 shown]
	s_waitcnt lgkmcnt(0)
	s_barrier
	buffer_gl0_inv
	ds_read2_b64 v[7:10], v163 offset1:105
	ds_read2_b64 v[11:14], v6 offset0:82 offset1:187
	v_mad_u64_u32 v[15:16], null, s10, v136, 0
	v_mad_u64_u32 v[19:20], null, s8, v164, 0
	s_waitcnt lgkmcnt(1)
	v_mul_f32_e32 v0, v152, v8
	v_mul_f32_e32 v1, v152, v7
	;; [unrolled: 1-line block ×4, first 2 shown]
	s_waitcnt lgkmcnt(0)
	v_mul_f32_e32 v25, v146, v12
	v_fmac_f32_e32 v0, v151, v7
	v_fma_f32 v7, v151, v8, -v1
	v_fmac_f32_e32 v21, v143, v9
	v_fma_f32 v9, v143, v10, -v22
	v_mul_f32_e32 v10, v146, v11
	v_cvt_f64_f32_e32 v[0:1], v0
	v_cvt_f64_f32_e32 v[7:8], v7
	v_fmac_f32_e32 v25, v145, v11
	v_cvt_f64_f32_e32 v[23:24], v9
	v_fma_f32 v9, v145, v12, -v10
	v_add_nc_u32_e32 v10, 0xc00, v163
	v_cvt_f64_f32_e32 v[21:22], v21
	v_cvt_f64_f32_e32 v[25:26], v25
	v_mul_f32_e32 v31, v156, v14
	v_cvt_f64_f32_e32 v[27:28], v9
	v_mul_f32_e32 v32, v156, v13
	v_fmac_f32_e32 v31, v155, v13
	v_fma_f32 v13, v155, v14, -v32
	v_mul_f64 v[0:1], v[0:1], s[4:5]
	v_mul_f64 v[17:18], v[7:8], s[4:5]
	v_cvt_f32_f64_e32 v0, v[0:1]
	v_mad_u64_u32 v[7:8], null, s11, v136, v[16:17]
	v_mov_b32_e32 v8, v20
	v_cvt_f32_f64_e32 v1, v[17:18]
	v_mul_f64 v[17:18], v[23:24], s[4:5]
	v_cvt_f64_f32_e32 v[23:24], v31
	v_mad_u64_u32 v[11:12], null, s9, v164, v[8:9]
	v_mov_b32_e32 v16, v7
	ds_read2_b64 v[7:10], v10 offset0:36 offset1:141
	v_lshlrev_b64 v[15:16], 3, v[15:16]
	v_mov_b32_e32 v20, v11
	v_lshlrev_b64 v[11:12], 3, v[19:20]
	v_add_co_u32 v29, s0, s2, v15
	v_add_co_ci_u32_e64 v30, s0, s3, v16, s0
	v_mul_f64 v[19:20], v[25:26], s[4:5]
	v_cvt_f64_f32_e32 v[25:26], v13
	v_mul_f64 v[15:16], v[21:22], s[4:5]
	v_mul_f64 v[21:22], v[27:28], s[4:5]
	s_waitcnt lgkmcnt(0)
	v_mul_f32_e32 v32, v154, v7
	v_mul_f32_e32 v14, v154, v8
	;; [unrolled: 1-line block ×3, first 2 shown]
	v_fma_f32 v13, v153, v8, -v32
	v_fmac_f32_e32 v14, v153, v7
	v_add_co_u32 v7, s0, v29, v11
	v_add_co_ci_u32_e64 v8, s0, v30, v12, s0
	v_cvt_f64_f32_e32 v[29:30], v13
	v_cvt_f64_f32_e32 v[27:28], v14
	ds_read2_b64 v[11:14], v4 offset0:118 offset1:223
	global_store_dwordx2 v[7:8], v[0:1], off
	v_cvt_f32_f64_e32 v1, v[17:18]
	v_mul_f64 v[17:18], v[23:24], s[4:5]
	v_fmac_f32_e32 v31, v149, v9
	v_mul_f32_e32 v9, v150, v9
	v_cvt_f32_f64_e32 v0, v[15:16]
	v_cvt_f32_f64_e32 v15, v[19:20]
	;; [unrolled: 1-line block ×3, first 2 shown]
	s_mul_i32 s0, s9, 0x69
	v_fma_f32 v9, v149, v10, -v9
	s_add_i32 s1, s1, s0
	s_mul_i32 s0, s8, 0x69
	v_mul_f64 v[19:20], v[25:26], s[4:5]
	s_lshl_b64 s[2:3], s[0:1], 3
	v_add_co_u32 v7, s0, v7, s2
	v_add_co_ci_u32_e64 v8, s0, s3, v8, s0
	v_mul_f64 v[23:24], v[29:30], s[4:5]
	s_waitcnt lgkmcnt(0)
	v_mul_f32_e32 v29, v148, v12
	v_mul_f32_e32 v30, v148, v11
	v_add_co_u32 v25, s0, v7, s2
	v_add_co_ci_u32_e64 v26, s0, s3, v8, s0
	v_fmac_f32_e32 v29, v147, v11
	v_fma_f32 v10, v147, v12, -v30
	global_store_dwordx2 v[7:8], v[0:1], off
	v_cvt_f64_f32_e32 v[0:1], v9
	v_mul_f64 v[21:22], v[27:28], s[4:5]
	v_cvt_f64_f32_e32 v[11:12], v29
	v_cvt_f64_f32_e32 v[29:30], v10
	ds_read2_b64 v[7:10], v3 offset0:72 offset1:177
	v_cvt_f64_f32_e32 v[27:28], v31
	global_store_dwordx2 v[25:26], v[15:16], off
	v_cvt_f32_f64_e32 v31, v[17:18]
	ds_read2_b64 v[15:18], v2 offset0:26 offset1:131
	v_mul_f32_e32 v33, v142, v14
	v_mul_f32_e32 v34, v142, v13
	v_cvt_f32_f64_e32 v32, v[19:20]
	v_add_co_u32 v19, s0, v25, s2
	v_fmac_f32_e32 v33, v141, v13
	v_fma_f32 v34, v141, v14, -v34
	v_add_co_ci_u32_e64 v20, s0, s3, v26, s0
	v_mul_f64 v[0:1], v[0:1], s[4:5]
	v_cvt_f32_f64_e32 v21, v[21:22]
	s_waitcnt lgkmcnt(1)
	v_mul_f32_e32 v35, v135, v8
	v_mul_f64 v[13:14], v[29:30], s[4:5]
	ds_read_b64 v[29:30], v163 offset:10080
	v_mul_f32_e32 v36, v135, v7
	s_waitcnt lgkmcnt(1)
	v_mul_f32_e32 v39, v131, v16
	v_mul_f64 v[25:26], v[27:28], s[4:5]
	v_cvt_f64_f32_e32 v[27:28], v33
	v_cvt_f64_f32_e32 v[33:34], v34
	v_mul_f32_e32 v37, v133, v10
	v_mul_f32_e32 v38, v133, v9
	v_fmac_f32_e32 v35, v134, v7
	v_fma_f32 v36, v134, v8, -v36
	v_cvt_f32_f64_e32 v22, v[23:24]
	v_fmac_f32_e32 v39, v130, v15
	v_mul_f32_e32 v15, v131, v15
	v_mul_f32_e32 v41, v138, v18
	v_mul_f32_e32 v42, v138, v17
	v_fmac_f32_e32 v37, v132, v9
	v_fma_f32 v38, v132, v10, -v38
	v_cvt_f64_f32_e32 v[7:8], v35
	v_cvt_f64_f32_e32 v[9:10], v36
	v_fma_f32 v15, v130, v16, -v15
	s_waitcnt lgkmcnt(0)
	v_mul_f32_e32 v43, v140, v30
	v_mul_f32_e32 v44, v140, v29
	v_fmac_f32_e32 v41, v137, v17
	v_fma_f32 v42, v137, v18, -v42
	v_mul_f64 v[11:12], v[11:12], s[4:5]
	v_fmac_f32_e32 v43, v139, v29
	v_fma_f32 v44, v139, v30, -v44
	v_cvt_f64_f32_e32 v[35:36], v37
	v_cvt_f64_f32_e32 v[37:38], v38
	;; [unrolled: 1-line block ×8, first 2 shown]
	v_add_co_u32 v23, s0, v19, s2
	v_add_co_ci_u32_e64 v24, s0, s3, v20, s0
	global_store_dwordx2 v[19:20], v[31:32], off
	global_store_dwordx2 v[23:24], v[21:22], off
	v_cvt_f32_f64_e32 v20, v[0:1]
	v_mul_f64 v[0:1], v[27:28], s[4:5]
	v_mul_f64 v[21:22], v[33:34], s[4:5]
	v_mul_f64 v[7:8], v[7:8], s[4:5]
	v_mul_f64 v[9:10], v[9:10], s[4:5]
	v_cvt_f32_f64_e32 v19, v[25:26]
	v_cvt_f32_f64_e32 v11, v[11:12]
	;; [unrolled: 1-line block ×3, first 2 shown]
	v_mul_f64 v[13:14], v[35:36], s[4:5]
	v_mul_f64 v[25:26], v[37:38], s[4:5]
	v_mul_f64 v[27:28], v[39:40], s[4:5]
	v_add_co_u32 v23, s0, v23, s2
	v_mul_f64 v[15:16], v[15:16], s[4:5]
	v_mul_f64 v[17:18], v[17:18], s[4:5]
	;; [unrolled: 1-line block ×3, first 2 shown]
	v_add_co_ci_u32_e64 v24, s0, s3, v24, s0
	v_mul_f64 v[31:32], v[41:42], s[4:5]
	v_mul_f64 v[33:34], v[43:44], s[4:5]
	v_add_co_u32 v35, s0, v23, s2
	v_add_co_ci_u32_e64 v36, s0, s3, v24, s0
	v_cvt_f32_f64_e32 v0, v[0:1]
	v_cvt_f32_f64_e32 v1, v[21:22]
	v_add_co_u32 v21, s0, v35, s2
	v_add_co_ci_u32_e64 v22, s0, s3, v36, s0
	v_cvt_f32_f64_e32 v7, v[7:8]
	v_cvt_f32_f64_e32 v8, v[9:10]
	;; [unrolled: 4-line block ×3, first 2 shown]
	v_cvt_f32_f64_e32 v25, v[27:28]
	v_add_co_u32 v27, s0, v9, s2
	v_cvt_f32_f64_e32 v26, v[15:16]
	v_add_co_ci_u32_e64 v28, s0, s3, v10, s0
	v_cvt_f32_f64_e32 v15, v[17:18]
	v_cvt_f32_f64_e32 v16, v[29:30]
	;; [unrolled: 1-line block ×4, first 2 shown]
	global_store_dwordx2 v[23:24], v[19:20], off
	v_add_co_u32 v19, s0, v27, s2
	v_add_co_ci_u32_e64 v20, s0, s3, v28, s0
	global_store_dwordx2 v[35:36], v[11:12], off
	v_add_co_u32 v11, s0, v19, s2
	v_add_co_ci_u32_e64 v12, s0, s3, v20, s0
	;; [unrolled: 3-line block ×3, first 2 shown]
	global_store_dwordx2 v[9:10], v[7:8], off
	global_store_dwordx2 v[27:28], v[13:14], off
	;; [unrolled: 1-line block ×5, first 2 shown]
	s_and_b32 exec_lo, exec_lo, vcc_lo
	s_cbranch_execz .LBB0_23
; %bb.22:
	global_load_dwordx2 v[7:8], v[128:129], off offset:728
	ds_read_b64 v[9:10], v166 offset:728
	v_mad_u64_u32 v[0:1], null, 0xffffdb78, s8, v[0:1]
	s_mul_i32 s0, s9, 0xffffdb78
	s_sub_i32 s0, s0, s8
	v_add_nc_u32_e32 v1, s0, v1
	s_waitcnt vmcnt(0) lgkmcnt(0)
	v_mul_f32_e32 v11, v10, v8
	v_mul_f32_e32 v8, v9, v8
	v_fmac_f32_e32 v11, v9, v7
	v_fma_f32 v9, v7, v10, -v8
	v_cvt_f64_f32_e32 v[7:8], v11
	v_cvt_f64_f32_e32 v[9:10], v9
	v_mul_f64 v[7:8], v[7:8], s[4:5]
	v_mul_f64 v[9:10], v[9:10], s[4:5]
	v_cvt_f32_f64_e32 v7, v[7:8]
	v_cvt_f32_f64_e32 v8, v[9:10]
	global_store_dwordx2 v[0:1], v[7:8], off
	global_load_dwordx2 v[10:11], v[128:129], off offset:1568
	ds_read2_b64 v[6:9], v6 offset0:68 offset1:173
	v_add_co_u32 v0, vcc_lo, v0, s2
	v_add_co_ci_u32_e32 v1, vcc_lo, s3, v1, vcc_lo
	s_waitcnt vmcnt(0) lgkmcnt(0)
	v_mul_f32_e32 v12, v7, v11
	v_mul_f32_e32 v11, v6, v11
	v_fmac_f32_e32 v12, v6, v10
	v_fma_f32 v10, v10, v7, -v11
	v_cvt_f64_f32_e32 v[6:7], v12
	v_cvt_f64_f32_e32 v[10:11], v10
	v_mul_f64 v[6:7], v[6:7], s[4:5]
	v_mul_f64 v[10:11], v[10:11], s[4:5]
	v_cvt_f32_f64_e32 v6, v[6:7]
	v_cvt_f32_f64_e32 v7, v[10:11]
	global_store_dwordx2 v[0:1], v[6:7], off
	global_load_dwordx2 v[6:7], v[126:127], off offset:360
	v_add_co_u32 v0, vcc_lo, v0, s2
	v_add_co_ci_u32_e32 v1, vcc_lo, s3, v1, vcc_lo
	s_waitcnt vmcnt(0)
	v_mul_f32_e32 v10, v9, v7
	v_mul_f32_e32 v7, v8, v7
	v_fmac_f32_e32 v10, v8, v6
	v_fma_f32 v8, v6, v9, -v7
	v_cvt_f64_f32_e32 v[6:7], v10
	v_cvt_f64_f32_e32 v[8:9], v8
	v_mul_f64 v[6:7], v[6:7], s[4:5]
	v_mul_f64 v[8:9], v[8:9], s[4:5]
	v_cvt_f32_f64_e32 v6, v[6:7]
	v_cvt_f32_f64_e32 v7, v[8:9]
	global_store_dwordx2 v[0:1], v[6:7], off
	global_load_dwordx2 v[9:10], v[126:127], off offset:1200
	ds_read2_b64 v[5:8], v5 offset0:150 offset1:255
	v_add_co_u32 v0, vcc_lo, v0, s2
	v_add_co_ci_u32_e32 v1, vcc_lo, s3, v1, vcc_lo
	s_waitcnt vmcnt(0) lgkmcnt(0)
	v_mul_f32_e32 v11, v6, v10
	v_mul_f32_e32 v10, v5, v10
	v_fmac_f32_e32 v11, v5, v9
	v_fma_f32 v9, v9, v6, -v10
	v_cvt_f64_f32_e32 v[5:6], v11
	v_cvt_f64_f32_e32 v[9:10], v9
	v_mul_f64 v[5:6], v[5:6], s[4:5]
	v_mul_f64 v[9:10], v[9:10], s[4:5]
	v_cvt_f32_f64_e32 v5, v[5:6]
	v_cvt_f32_f64_e32 v6, v[9:10]
	global_store_dwordx2 v[0:1], v[5:6], off
	global_load_dwordx2 v[5:6], v[126:127], off offset:2040
	v_add_co_u32 v0, vcc_lo, v0, s2
	v_add_co_ci_u32_e32 v1, vcc_lo, s3, v1, vcc_lo
	s_waitcnt vmcnt(0)
	;; [unrolled: 31-line block ×3, first 2 shown]
	v_mul_f32_e32 v8, v7, v5
	v_mul_f32_e32 v5, v6, v5
	v_fmac_f32_e32 v8, v6, v4
	v_fma_f32 v6, v4, v7, -v5
	v_cvt_f64_f32_e32 v[4:5], v8
	v_cvt_f64_f32_e32 v[6:7], v6
	v_mul_f64 v[4:5], v[4:5], s[4:5]
	v_mul_f64 v[6:7], v[6:7], s[4:5]
	v_cvt_f32_f64_e32 v4, v[4:5]
	v_cvt_f32_f64_e32 v5, v[6:7]
	global_store_dwordx2 v[0:1], v[4:5], off
	global_load_dwordx2 v[7:8], v[122:123], off offset:464
	ds_read2_b64 v[3:6], v3 offset0:58 offset1:163
	v_add_co_u32 v0, vcc_lo, v0, s2
	v_add_co_ci_u32_e32 v1, vcc_lo, s3, v1, vcc_lo
	s_waitcnt vmcnt(0) lgkmcnt(0)
	v_mul_f32_e32 v9, v4, v8
	v_mul_f32_e32 v8, v3, v8
	v_fmac_f32_e32 v9, v3, v7
	v_fma_f32 v7, v7, v4, -v8
	v_cvt_f64_f32_e32 v[3:4], v9
	v_cvt_f64_f32_e32 v[7:8], v7
	v_mul_f64 v[3:4], v[3:4], s[4:5]
	v_mul_f64 v[7:8], v[7:8], s[4:5]
	v_cvt_f32_f64_e32 v3, v[3:4]
	v_cvt_f32_f64_e32 v4, v[7:8]
	global_store_dwordx2 v[0:1], v[3:4], off
	global_load_dwordx2 v[3:4], v[122:123], off offset:1304
	s_waitcnt vmcnt(0)
	v_mul_f32_e32 v7, v6, v4
	v_mul_f32_e32 v4, v5, v4
	v_fmac_f32_e32 v7, v5, v3
	v_fma_f32 v5, v3, v6, -v4
	v_cvt_f64_f32_e32 v[3:4], v7
	v_cvt_f64_f32_e32 v[5:6], v5
	v_mul_f64 v[3:4], v[3:4], s[4:5]
	v_mul_f64 v[5:6], v[5:6], s[4:5]
	v_cvt_f32_f64_e32 v3, v[3:4]
	v_cvt_f32_f64_e32 v4, v[5:6]
	v_add_co_u32 v5, vcc_lo, v0, s2
	v_add_co_ci_u32_e32 v6, vcc_lo, s3, v1, vcc_lo
	global_store_dwordx2 v[5:6], v[3:4], off
	global_load_dwordx2 v[7:8], v[120:121], off offset:96
	ds_read2_b64 v[0:3], v2 offset0:12 offset1:117
	s_waitcnt vmcnt(0) lgkmcnt(0)
	v_mul_f32_e32 v4, v1, v8
	v_mul_f32_e32 v8, v0, v8
	v_fmac_f32_e32 v4, v0, v7
	v_fma_f32 v7, v7, v1, -v8
	v_cvt_f64_f32_e32 v[0:1], v4
	v_cvt_f64_f32_e32 v[7:8], v7
	v_add_co_u32 v4, vcc_lo, v5, s2
	v_add_co_ci_u32_e32 v5, vcc_lo, s3, v6, vcc_lo
	v_mul_f64 v[0:1], v[0:1], s[4:5]
	v_mul_f64 v[7:8], v[7:8], s[4:5]
	v_cvt_f32_f64_e32 v0, v[0:1]
	v_cvt_f32_f64_e32 v1, v[7:8]
	global_store_dwordx2 v[4:5], v[0:1], off
	global_load_dwordx2 v[0:1], v[120:121], off offset:936
	v_add_co_u32 v4, vcc_lo, v4, s2
	v_add_co_ci_u32_e32 v5, vcc_lo, s3, v5, vcc_lo
	s_waitcnt vmcnt(0)
	v_mul_f32_e32 v6, v3, v1
	v_mul_f32_e32 v1, v2, v1
	v_fmac_f32_e32 v6, v2, v0
	v_fma_f32 v2, v0, v3, -v1
	v_cvt_f64_f32_e32 v[0:1], v6
	v_cvt_f64_f32_e32 v[2:3], v2
	v_mul_f64 v[0:1], v[0:1], s[4:5]
	v_mul_f64 v[2:3], v[2:3], s[4:5]
	v_cvt_f32_f64_e32 v0, v[0:1]
	v_cvt_f32_f64_e32 v1, v[2:3]
	global_store_dwordx2 v[4:5], v[0:1], off
	global_load_dwordx2 v[6:7], v[120:121], off offset:1776
	v_add_nc_u32_e32 v0, 0x2400, v163
	v_add_co_u32 v4, vcc_lo, v4, s2
	v_add_co_ci_u32_e32 v5, vcc_lo, s3, v5, vcc_lo
	ds_read2_b64 v[0:3], v0 offset0:94 offset1:199
	s_waitcnt vmcnt(0) lgkmcnt(0)
	v_mul_f32_e32 v8, v1, v7
	v_mul_f32_e32 v7, v0, v7
	v_fmac_f32_e32 v8, v0, v6
	v_fma_f32 v6, v6, v1, -v7
	v_cvt_f64_f32_e32 v[0:1], v8
	v_cvt_f64_f32_e32 v[6:7], v6
	v_mul_f64 v[0:1], v[0:1], s[4:5]
	v_mul_f64 v[6:7], v[6:7], s[4:5]
	v_cvt_f32_f64_e32 v0, v[0:1]
	v_cvt_f32_f64_e32 v1, v[6:7]
	global_store_dwordx2 v[4:5], v[0:1], off
	global_load_dwordx2 v[0:1], v[157:158], off offset:568
	s_waitcnt vmcnt(0)
	v_mul_f32_e32 v6, v3, v1
	v_mul_f32_e32 v1, v2, v1
	v_fmac_f32_e32 v6, v2, v0
	v_fma_f32 v2, v0, v3, -v1
	v_cvt_f64_f32_e32 v[0:1], v6
	v_cvt_f64_f32_e32 v[2:3], v2
	v_mul_f64 v[0:1], v[0:1], s[4:5]
	v_mul_f64 v[2:3], v[2:3], s[4:5]
	v_cvt_f32_f64_e32 v0, v[0:1]
	v_cvt_f32_f64_e32 v1, v[2:3]
	v_add_co_u32 v2, vcc_lo, v4, s2
	v_add_co_ci_u32_e32 v3, vcc_lo, s3, v5, vcc_lo
	global_store_dwordx2 v[2:3], v[0:1], off
.LBB0_23:
	s_endpgm
	.section	.rodata,"a",@progbits
	.p2align	6, 0x0
	.amdhsa_kernel bluestein_single_back_len1365_dim1_sp_op_CI_CI
		.amdhsa_group_segment_fixed_size 21840
		.amdhsa_private_segment_fixed_size 0
		.amdhsa_kernarg_size 104
		.amdhsa_user_sgpr_count 6
		.amdhsa_user_sgpr_private_segment_buffer 1
		.amdhsa_user_sgpr_dispatch_ptr 0
		.amdhsa_user_sgpr_queue_ptr 0
		.amdhsa_user_sgpr_kernarg_segment_ptr 1
		.amdhsa_user_sgpr_dispatch_id 0
		.amdhsa_user_sgpr_flat_scratch_init 0
		.amdhsa_user_sgpr_private_segment_size 0
		.amdhsa_wavefront_size32 1
		.amdhsa_uses_dynamic_stack 0
		.amdhsa_system_sgpr_private_segment_wavefront_offset 0
		.amdhsa_system_sgpr_workgroup_id_x 1
		.amdhsa_system_sgpr_workgroup_id_y 0
		.amdhsa_system_sgpr_workgroup_id_z 0
		.amdhsa_system_sgpr_workgroup_info 0
		.amdhsa_system_vgpr_workitem_id 0
		.amdhsa_next_free_vgpr 249
		.amdhsa_next_free_sgpr 16
		.amdhsa_reserve_vcc 1
		.amdhsa_reserve_flat_scratch 0
		.amdhsa_float_round_mode_32 0
		.amdhsa_float_round_mode_16_64 0
		.amdhsa_float_denorm_mode_32 3
		.amdhsa_float_denorm_mode_16_64 3
		.amdhsa_dx10_clamp 1
		.amdhsa_ieee_mode 1
		.amdhsa_fp16_overflow 0
		.amdhsa_workgroup_processor_mode 1
		.amdhsa_memory_ordered 1
		.amdhsa_forward_progress 0
		.amdhsa_shared_vgpr_count 0
		.amdhsa_exception_fp_ieee_invalid_op 0
		.amdhsa_exception_fp_denorm_src 0
		.amdhsa_exception_fp_ieee_div_zero 0
		.amdhsa_exception_fp_ieee_overflow 0
		.amdhsa_exception_fp_ieee_underflow 0
		.amdhsa_exception_fp_ieee_inexact 0
		.amdhsa_exception_int_div_zero 0
	.end_amdhsa_kernel
	.text
.Lfunc_end0:
	.size	bluestein_single_back_len1365_dim1_sp_op_CI_CI, .Lfunc_end0-bluestein_single_back_len1365_dim1_sp_op_CI_CI
                                        ; -- End function
	.section	.AMDGPU.csdata,"",@progbits
; Kernel info:
; codeLenInByte = 27220
; NumSgprs: 18
; NumVgprs: 249
; ScratchSize: 0
; MemoryBound: 0
; FloatMode: 240
; IeeeMode: 1
; LDSByteSize: 21840 bytes/workgroup (compile time only)
; SGPRBlocks: 2
; VGPRBlocks: 31
; NumSGPRsForWavesPerEU: 18
; NumVGPRsForWavesPerEU: 249
; Occupancy: 4
; WaveLimiterHint : 1
; COMPUTE_PGM_RSRC2:SCRATCH_EN: 0
; COMPUTE_PGM_RSRC2:USER_SGPR: 6
; COMPUTE_PGM_RSRC2:TRAP_HANDLER: 0
; COMPUTE_PGM_RSRC2:TGID_X_EN: 1
; COMPUTE_PGM_RSRC2:TGID_Y_EN: 0
; COMPUTE_PGM_RSRC2:TGID_Z_EN: 0
; COMPUTE_PGM_RSRC2:TIDIG_COMP_CNT: 0
	.text
	.p2alignl 6, 3214868480
	.fill 48, 4, 3214868480
	.type	__hip_cuid_6d0e24b968aadb1e,@object ; @__hip_cuid_6d0e24b968aadb1e
	.section	.bss,"aw",@nobits
	.globl	__hip_cuid_6d0e24b968aadb1e
__hip_cuid_6d0e24b968aadb1e:
	.byte	0                               ; 0x0
	.size	__hip_cuid_6d0e24b968aadb1e, 1

	.ident	"AMD clang version 19.0.0git (https://github.com/RadeonOpenCompute/llvm-project roc-6.4.0 25133 c7fe45cf4b819c5991fe208aaa96edf142730f1d)"
	.section	".note.GNU-stack","",@progbits
	.addrsig
	.addrsig_sym __hip_cuid_6d0e24b968aadb1e
	.amdgpu_metadata
---
amdhsa.kernels:
  - .args:
      - .actual_access:  read_only
        .address_space:  global
        .offset:         0
        .size:           8
        .value_kind:     global_buffer
      - .actual_access:  read_only
        .address_space:  global
        .offset:         8
        .size:           8
        .value_kind:     global_buffer
      - .actual_access:  read_only
        .address_space:  global
        .offset:         16
        .size:           8
        .value_kind:     global_buffer
      - .actual_access:  read_only
        .address_space:  global
        .offset:         24
        .size:           8
        .value_kind:     global_buffer
      - .actual_access:  read_only
        .address_space:  global
        .offset:         32
        .size:           8
        .value_kind:     global_buffer
      - .offset:         40
        .size:           8
        .value_kind:     by_value
      - .address_space:  global
        .offset:         48
        .size:           8
        .value_kind:     global_buffer
      - .address_space:  global
        .offset:         56
        .size:           8
        .value_kind:     global_buffer
      - .address_space:  global
        .offset:         64
        .size:           8
        .value_kind:     global_buffer
      - .address_space:  global
        .offset:         72
        .size:           8
        .value_kind:     global_buffer
      - .offset:         80
        .size:           4
        .value_kind:     by_value
      - .address_space:  global
        .offset:         88
        .size:           8
        .value_kind:     global_buffer
      - .address_space:  global
        .offset:         96
        .size:           8
        .value_kind:     global_buffer
    .group_segment_fixed_size: 21840
    .kernarg_segment_align: 8
    .kernarg_segment_size: 104
    .language:       OpenCL C
    .language_version:
      - 2
      - 0
    .max_flat_workgroup_size: 182
    .name:           bluestein_single_back_len1365_dim1_sp_op_CI_CI
    .private_segment_fixed_size: 0
    .sgpr_count:     18
    .sgpr_spill_count: 0
    .symbol:         bluestein_single_back_len1365_dim1_sp_op_CI_CI.kd
    .uniform_work_group_size: 1
    .uses_dynamic_stack: false
    .vgpr_count:     249
    .vgpr_spill_count: 0
    .wavefront_size: 32
    .workgroup_processor_mode: 1
amdhsa.target:   amdgcn-amd-amdhsa--gfx1030
amdhsa.version:
  - 1
  - 2
...

	.end_amdgpu_metadata
